;; amdgpu-corpus repo=ROCm/aiter kind=compiled arch=gfx1100 opt=O3
	.text
	.amdgcn_target "amdgcn-amd-amdhsa--gfx1100"
	.amdhsa_code_object_version 6
	.section	.text._ZN7ck_tileL11flush_cacheEv,"axG",@progbits,_ZN7ck_tileL11flush_cacheEv,comdat
	.globl	_ZN7ck_tileL11flush_cacheEv     ; -- Begin function _ZN7ck_tileL11flush_cacheEv
	.p2align	8
	.type	_ZN7ck_tileL11flush_cacheEv,@function
_ZN7ck_tileL11flush_cacheEv:            ; @_ZN7ck_tileL11flush_cacheEv
; %bb.0:
	;;#ASMSTART
	s_icache_inv 
	s_nop 0 
	s_nop 0 
	;; [unrolled: 1-line block ×16, first 2 shown]
	
	;;#ASMEND
	s_endpgm
	.section	.rodata,"a",@progbits
	.p2align	6, 0x0
	.amdhsa_kernel _ZN7ck_tileL11flush_cacheEv
		.amdhsa_group_segment_fixed_size 0
		.amdhsa_private_segment_fixed_size 0
		.amdhsa_kernarg_size 0
		.amdhsa_user_sgpr_count 15
		.amdhsa_user_sgpr_dispatch_ptr 0
		.amdhsa_user_sgpr_queue_ptr 0
		.amdhsa_user_sgpr_kernarg_segment_ptr 0
		.amdhsa_user_sgpr_dispatch_id 0
		.amdhsa_user_sgpr_private_segment_size 0
		.amdhsa_wavefront_size32 1
		.amdhsa_uses_dynamic_stack 0
		.amdhsa_enable_private_segment 0
		.amdhsa_system_sgpr_workgroup_id_x 1
		.amdhsa_system_sgpr_workgroup_id_y 0
		.amdhsa_system_sgpr_workgroup_id_z 0
		.amdhsa_system_sgpr_workgroup_info 0
		.amdhsa_system_vgpr_workitem_id 0
		.amdhsa_next_free_vgpr 1
		.amdhsa_next_free_sgpr 1
		.amdhsa_reserve_vcc 0
		.amdhsa_float_round_mode_32 0
		.amdhsa_float_round_mode_16_64 0
		.amdhsa_float_denorm_mode_32 3
		.amdhsa_float_denorm_mode_16_64 3
		.amdhsa_dx10_clamp 1
		.amdhsa_ieee_mode 1
		.amdhsa_fp16_overflow 0
		.amdhsa_workgroup_processor_mode 1
		.amdhsa_memory_ordered 1
		.amdhsa_forward_progress 0
		.amdhsa_shared_vgpr_count 0
		.amdhsa_exception_fp_ieee_invalid_op 0
		.amdhsa_exception_fp_denorm_src 0
		.amdhsa_exception_fp_ieee_div_zero 0
		.amdhsa_exception_fp_ieee_overflow 0
		.amdhsa_exception_fp_ieee_underflow 0
		.amdhsa_exception_fp_ieee_inexact 0
		.amdhsa_exception_int_div_zero 0
	.end_amdhsa_kernel
	.section	.text._ZN7ck_tileL11flush_cacheEv,"axG",@progbits,_ZN7ck_tileL11flush_cacheEv,comdat
.Lfunc_end0:
	.size	_ZN7ck_tileL11flush_cacheEv, .Lfunc_end0-_ZN7ck_tileL11flush_cacheEv
                                        ; -- End function
	.section	.AMDGPU.csdata,"",@progbits
; Kernel info:
; codeLenInByte = 344
; NumSgprs: 0
; NumVgprs: 0
; ScratchSize: 0
; MemoryBound: 0
; FloatMode: 240
; IeeeMode: 1
; LDSByteSize: 0 bytes/workgroup (compile time only)
; SGPRBlocks: 0
; VGPRBlocks: 0
; NumSGPRsForWavesPerEU: 1
; NumVGPRsForWavesPerEU: 1
; Occupancy: 16
; WaveLimiterHint : 0
; COMPUTE_PGM_RSRC2:SCRATCH_EN: 0
; COMPUTE_PGM_RSRC2:USER_SGPR: 15
; COMPUTE_PGM_RSRC2:TRAP_HANDLER: 0
; COMPUTE_PGM_RSRC2:TGID_X_EN: 1
; COMPUTE_PGM_RSRC2:TGID_Y_EN: 0
; COMPUTE_PGM_RSRC2:TGID_Z_EN: 0
; COMPUTE_PGM_RSRC2:TIDIG_COMP_CNT: 0
	.section	.text._ZN4vllm27moe_align_block_size_kernelIhEEvPT_PiS3_S3_S3_iim,"axG",@progbits,_ZN4vllm27moe_align_block_size_kernelIhEEvPT_PiS3_S3_S3_iim,comdat
	.protected	_ZN4vllm27moe_align_block_size_kernelIhEEvPT_PiS3_S3_S3_iim ; -- Begin function _ZN4vllm27moe_align_block_size_kernelIhEEvPT_PiS3_S3_S3_iim
	.globl	_ZN4vllm27moe_align_block_size_kernelIhEEvPT_PiS3_S3_S3_iim
	.p2align	8
	.type	_ZN4vllm27moe_align_block_size_kernelIhEEvPT_PiS3_S3_S3_iim,@function
_ZN4vllm27moe_align_block_size_kernelIhEEvPT_PiS3_S3_S3_iim: ; @_ZN4vllm27moe_align_block_size_kernelIhEEvPT_PiS3_S3_S3_iim
; %bb.0:
	s_clause 0x1
	s_load_b32 s2, s[0:1], 0x44
	s_load_b64 s[4:5], s[0:1], 0x30
	s_mov_b32 s6, 0
	s_waitcnt lgkmcnt(0)
	s_and_b32 s3, s2, 0xffff
	s_delay_alu instid0(SALU_CYCLE_1) | instskip(SKIP_3) | instid1(SALU_CYCLE_1)
	s_add_u32 s2, s4, s3
	s_addc_u32 s7, s5, 0
	s_add_u32 s8, s2, -1
	s_addc_u32 s7, s7, -1
	s_cmp_lg_u64 s[6:7], 0
	s_cbranch_scc0 .LBB1_25
; %bb.1:
	v_cvt_f32_u32_e32 v1, s3
	s_sub_u32 s10, 0, s3
	s_subb_u32 s11, 0, 0
	s_delay_alu instid0(VALU_DEP_1) | instskip(NEXT) | instid1(VALU_DEP_1)
	v_fmamk_f32 v1, 0, 0x4f800000, v1
	v_rcp_f32_e32 v1, v1
	s_waitcnt_depctr 0xfff
	v_mul_f32_e32 v1, 0x5f7ffffc, v1
	s_delay_alu instid0(VALU_DEP_1) | instskip(NEXT) | instid1(VALU_DEP_1)
	v_mul_f32_e32 v2, 0x2f800000, v1
	v_trunc_f32_e32 v2, v2
	s_delay_alu instid0(VALU_DEP_1) | instskip(SKIP_1) | instid1(VALU_DEP_2)
	v_fmamk_f32 v1, v2, 0xcf800000, v1
	v_cvt_u32_f32_e32 v2, v2
	v_cvt_u32_f32_e32 v1, v1
	s_delay_alu instid0(VALU_DEP_2) | instskip(NEXT) | instid1(VALU_DEP_2)
	v_readfirstlane_b32 s2, v2
	v_readfirstlane_b32 s9, v1
	s_delay_alu instid0(VALU_DEP_2) | instskip(NEXT) | instid1(VALU_DEP_1)
	s_mul_i32 s12, s10, s2
	s_mul_hi_u32 s14, s10, s9
	s_mul_i32 s13, s11, s9
	s_add_i32 s12, s14, s12
	s_mul_i32 s15, s10, s9
	s_add_i32 s12, s12, s13
	s_mul_hi_u32 s14, s9, s15
	s_mul_hi_u32 s16, s2, s15
	s_mul_i32 s13, s2, s15
	s_mul_hi_u32 s15, s9, s12
	s_mul_i32 s9, s9, s12
	s_mul_hi_u32 s17, s2, s12
	s_add_u32 s9, s14, s9
	s_addc_u32 s14, 0, s15
	s_add_u32 s9, s9, s13
	s_mul_i32 s12, s2, s12
	s_addc_u32 s9, s14, s16
	s_addc_u32 s13, s17, 0
	s_add_u32 s9, s9, s12
	s_addc_u32 s12, 0, s13
	v_add_co_u32 v1, s9, v1, s9
	s_delay_alu instid0(VALU_DEP_1) | instskip(SKIP_1) | instid1(VALU_DEP_1)
	s_cmp_lg_u32 s9, 0
	s_addc_u32 s2, s2, s12
	v_readfirstlane_b32 s9, v1
	s_mul_i32 s12, s10, s2
	s_delay_alu instid0(VALU_DEP_1)
	s_mul_hi_u32 s13, s10, s9
	s_mul_i32 s11, s11, s9
	s_add_i32 s12, s13, s12
	s_mul_i32 s10, s10, s9
	s_add_i32 s12, s12, s11
	s_mul_hi_u32 s13, s2, s10
	s_mul_i32 s14, s2, s10
	s_mul_hi_u32 s10, s9, s10
	s_mul_hi_u32 s15, s9, s12
	s_mul_i32 s9, s9, s12
	s_mul_hi_u32 s11, s2, s12
	s_add_u32 s9, s10, s9
	s_addc_u32 s10, 0, s15
	s_add_u32 s9, s9, s14
	s_mul_i32 s12, s2, s12
	s_addc_u32 s9, s10, s13
	s_addc_u32 s10, s11, 0
	s_add_u32 s9, s9, s12
	s_addc_u32 s10, 0, s10
	v_add_co_u32 v1, s9, v1, s9
	s_delay_alu instid0(VALU_DEP_1) | instskip(SKIP_1) | instid1(VALU_DEP_1)
	s_cmp_lg_u32 s9, 0
	s_addc_u32 s2, s2, s10
	v_readfirstlane_b32 s9, v1
	s_mul_i32 s11, s8, s2
	s_mul_hi_u32 s10, s8, s2
	s_mul_hi_u32 s12, s7, s2
	s_mul_i32 s2, s7, s2
	s_mul_hi_u32 s13, s8, s9
	s_mul_hi_u32 s14, s7, s9
	s_mul_i32 s9, s7, s9
	s_add_u32 s11, s13, s11
	s_addc_u32 s10, 0, s10
	s_add_u32 s9, s11, s9
	s_addc_u32 s9, s10, s14
	s_addc_u32 s10, s12, 0
	s_add_u32 s9, s9, s2
	s_addc_u32 s10, 0, s10
	s_mul_i32 s12, s3, s9
	s_add_u32 s11, s9, 1
	v_sub_co_u32 v1, s12, s8, s12
	s_mul_hi_u32 s2, s3, s9
	s_addc_u32 s13, s10, 0
	s_mul_i32 s14, s3, s10
	s_add_u32 s15, s9, 2
	s_addc_u32 s16, s10, 0
	v_mov_b32_e32 v3, s15
	s_add_i32 s2, s2, s14
	s_cmp_lg_u32 s12, 0
	v_sub_co_u32 v2, s12, v1, s3
	s_subb_u32 s2, s7, s2
	s_cmp_lg_u32 s12, 0
	v_mov_b32_e32 v4, s16
	s_delay_alu instid0(VALU_DEP_2) | instskip(SKIP_1) | instid1(SALU_CYCLE_1)
	v_cmp_le_u32_e32 vcc_lo, s3, v2
	s_subb_u32 s7, s2, 0
	s_cmp_eq_u32 s7, 0
	v_cndmask_b32_e64 v2, 0, -1, vcc_lo
	s_cselect_b32 vcc_lo, -1, 0
	s_cmp_eq_u32 s2, 0
	s_cselect_b32 s2, -1, 0
	s_delay_alu instid0(VALU_DEP_1) | instskip(SKIP_2) | instid1(VALU_DEP_3)
	v_cndmask_b32_e32 v2, -1, v2, vcc_lo
	v_cmp_le_u32_e32 vcc_lo, s3, v1
	v_cndmask_b32_e64 v1, 0, -1, vcc_lo
	v_cmp_ne_u32_e32 vcc_lo, 0, v2
	s_delay_alu instid0(VALU_DEP_2) | instskip(SKIP_2) | instid1(VALU_DEP_3)
	v_cndmask_b32_e64 v1, -1, v1, s2
	v_cndmask_b32_e32 v2, s11, v3, vcc_lo
	v_cndmask_b32_e32 v3, s13, v4, vcc_lo
	v_cmp_ne_u32_e32 vcc_lo, 0, v1
	s_delay_alu instid0(VALU_DEP_2) | instskip(NEXT) | instid1(VALU_DEP_4)
	v_cndmask_b32_e32 v4, s10, v3, vcc_lo
	v_cndmask_b32_e32 v3, s9, v2, vcc_lo
	s_and_not1_b32 vcc_lo, exec_lo, s6
	s_cbranch_vccnz .LBB1_3
.LBB1_2:
	v_cvt_f32_u32_e32 v1, s3
	s_sub_i32 s6, 0, s3
	s_delay_alu instid0(VALU_DEP_1) | instskip(SKIP_2) | instid1(VALU_DEP_1)
	v_rcp_iflag_f32_e32 v1, v1
	s_waitcnt_depctr 0xfff
	v_mul_f32_e32 v1, 0x4f7ffffe, v1
	v_cvt_u32_f32_e32 v1, v1
	s_delay_alu instid0(VALU_DEP_1) | instskip(NEXT) | instid1(VALU_DEP_1)
	v_readfirstlane_b32 s2, v1
	s_mul_i32 s6, s6, s2
	s_delay_alu instid0(SALU_CYCLE_1) | instskip(NEXT) | instid1(SALU_CYCLE_1)
	s_mul_hi_u32 s6, s2, s6
	s_add_i32 s2, s2, s6
	s_delay_alu instid0(SALU_CYCLE_1) | instskip(NEXT) | instid1(SALU_CYCLE_1)
	s_mul_hi_u32 s2, s8, s2
	s_mul_i32 s6, s2, s3
	s_add_i32 s7, s2, 1
	s_sub_i32 s6, s8, s6
	s_delay_alu instid0(SALU_CYCLE_1)
	s_sub_i32 s8, s6, s3
	s_cmp_ge_u32 s6, s3
	s_cselect_b32 s2, s7, s2
	s_cselect_b32 s6, s8, s6
	s_add_i32 s7, s2, 1
	s_cmp_ge_u32 s6, s3
	s_mov_b32 s3, 0
	s_cselect_b32 s2, s7, s2
	s_delay_alu instid0(SALU_CYCLE_1)
	v_dual_mov_b32 v4, s3 :: v_dual_mov_b32 v3, s2
.LBB1_3:
	s_clause 0x1
	s_load_b64 s[14:15], s[0:1], 0x28
	s_load_b64 s[12:13], s[0:1], 0x0
	s_waitcnt lgkmcnt(0)
	v_cmp_gt_u32_e64 s2, s14, v0
	s_delay_alu instid0(VALU_DEP_1)
	s_and_saveexec_b32 s3, s2
	s_cbranch_execz .LBB1_5
; %bb.4:
	v_lshl_add_u32 v1, v0, 2, 0
	v_mov_b32_e32 v2, 0
	ds_store_b32 v1, v2
.LBB1_5:
	s_or_b32 exec_lo, exec_lo, s3
	v_mad_u64_u32 v[1:2], null, v3, v0, 0
	s_waitcnt lgkmcnt(0)
	s_barrier
	buffer_gl0_inv
	v_mad_u64_u32 v[5:6], null, v4, v0, v[2:3]
	v_add_co_u32 v2, vcc_lo, v1, v3
	s_delay_alu instid0(VALU_DEP_2) | instskip(NEXT) | instid1(VALU_DEP_1)
	v_add_co_ci_u32_e32 v3, vcc_lo, v5, v4, vcc_lo
	v_cmp_lt_u64_e32 vcc_lo, s[4:5], v[2:3]
	v_cndmask_b32_e64 v4, v3, s5, vcc_lo
	v_cndmask_b32_e64 v3, v2, s4, vcc_lo
	v_ashrrev_i32_e32 v2, 31, v1
	s_delay_alu instid0(VALU_DEP_1)
	v_cmp_lt_u64_e32 vcc_lo, v[1:2], v[3:4]
	s_and_saveexec_b32 s4, vcc_lo
	s_cbranch_execz .LBB1_8
; %bb.6:
	v_dual_mov_b32 v7, 1 :: v_dual_mov_b32 v6, v2
	v_mov_b32_e32 v5, v1
	v_mov_b32_e32 v8, v1
	s_mov_b32 s5, 0
	.p2align	6
.LBB1_7:                                ; =>This Inner Loop Header: Depth=1
	s_delay_alu instid0(VALU_DEP_2) | instskip(NEXT) | instid1(VALU_DEP_1)
	v_add_co_u32 v5, s3, s12, v5
	v_add_co_ci_u32_e64 v6, s3, s13, v6, s3
	global_load_u8 v5, v[5:6], off
	s_waitcnt vmcnt(0)
	v_lshl_add_u32 v5, v5, 2, 0
	ds_add_u32 v5, v7
	v_add_nc_u32_e32 v5, 1, v8
	s_delay_alu instid0(VALU_DEP_1) | instskip(SKIP_1) | instid1(VALU_DEP_2)
	v_ashrrev_i32_e32 v6, 31, v5
	v_mov_b32_e32 v8, v5
	v_cmp_le_u64_e64 s3, v[3:4], v[5:6]
	s_delay_alu instid0(VALU_DEP_1) | instskip(NEXT) | instid1(SALU_CYCLE_1)
	s_or_b32 s5, s3, s5
	s_and_not1_b32 exec_lo, exec_lo, s5
	s_cbranch_execnz .LBB1_7
.LBB1_8:
	s_or_b32 exec_lo, exec_lo, s4
	s_load_b256 s[4:11], s[0:1], 0x8
	s_lshl_b32 s17, s14, 2
	s_mov_b32 s16, exec_lo
	s_add_i32 s1, s17, 0
	s_waitcnt lgkmcnt(0)
	s_add_i32 s3, s1, s17
	s_barrier
	buffer_gl0_inv
	v_cmpx_eq_u32_e32 0, v0
	s_cbranch_execz .LBB1_17
; %bb.9:
	v_dual_mov_b32 v5, 0 :: v_dual_mov_b32 v6, s1
	s_cmp_lt_i32 s14, 1
	ds_store_b32 v6, v5
	s_cbranch_scc1 .LBB1_16
; %bb.10:
	s_add_i32 s18, s15, -1
	s_mov_b32 s0, 0
	s_cmp_lt_u32 s14, 8
	s_mov_b32 s25, 0
	s_cbranch_scc1 .LBB1_13
; %bb.11:
	s_abs_i32 s19, s15
	s_and_b32 s0, s14, 0x7ffffff8
	v_cvt_f32_u32_e32 v6, s19
	s_sub_i32 s22, 0, s19
	s_ashr_i32 s20, s15, 31
	s_mov_b32 s21, 0
	s_delay_alu instid0(VALU_DEP_1) | instskip(SKIP_2) | instid1(VALU_DEP_1)
	v_rcp_iflag_f32_e32 v6, v6
	s_waitcnt_depctr 0xfff
	v_mul_f32_e32 v6, 0x4f7ffffe, v6
	v_cvt_u32_f32_e32 v6, v6
	s_delay_alu instid0(VALU_DEP_1) | instskip(NEXT) | instid1(VALU_DEP_1)
	v_readfirstlane_b32 s23, v6
	s_mul_i32 s24, s22, s23
	s_lshl_b32 s22, s14, 3
	s_mul_hi_u32 s24, s23, s24
	s_delay_alu instid0(SALU_CYCLE_1)
	s_add_i32 s23, s23, s24
	s_mov_b32 s24, 0
.LBB1_12:                               ; =>This Inner Loop Header: Depth=1
	v_mov_b32_e32 v6, s21
	s_mul_i32 s26, s25, s15
	s_delay_alu instid0(SALU_CYCLE_1) | instskip(SKIP_3) | instid1(VALU_DEP_1)
	v_mov_b32_e32 v8, s26
	ds_load_b32 v7, v6
	s_waitcnt lgkmcnt(0)
	v_readfirstlane_b32 s26, v7
	s_add_i32 s26, s18, s26
	s_delay_alu instid0(SALU_CYCLE_1)
	s_abs_i32 s27, s26
	s_ashr_i32 s26, s26, 31
	s_mul_hi_u32 s28, s27, s23
	s_xor_b32 s26, s26, s20
	s_mul_i32 s29, s28, s19
	s_add_i32 s30, s28, 1
	s_sub_i32 s27, s27, s29
	s_delay_alu instid0(SALU_CYCLE_1)
	s_sub_i32 s29, s27, s19
	s_cmp_ge_u32 s27, s19
	s_cselect_b32 s28, s30, s28
	s_cselect_b32 s27, s29, s27
	s_add_i32 s29, s28, 1
	s_cmp_ge_u32 s27, s19
	s_cselect_b32 s27, s29, s28
	s_add_i32 s28, s21, s17
	s_xor_b32 s27, s27, s26
	s_add_i32 s29, s21, s22
	s_sub_i32 s26, s27, s26
	v_mov_b32_e32 v9, s29
	s_add_i32 s25, s25, s26
	s_delay_alu instid0(SALU_CYCLE_1)
	v_dual_mov_b32 v7, s28 :: v_dual_mov_b32 v10, s25
	s_mul_i32 s26, s25, s15
	ds_store_b32 v7, v10 offset:4
	ds_store_b32 v9, v8 offset:4
	ds_load_b32 v8, v6 offset:4
	v_mov_b32_e32 v10, s26
	s_waitcnt lgkmcnt(0)
	v_readfirstlane_b32 s26, v8
	s_delay_alu instid0(VALU_DEP_1) | instskip(NEXT) | instid1(SALU_CYCLE_1)
	s_add_i32 s26, s18, s26
	s_abs_i32 s27, s26
	s_ashr_i32 s26, s26, 31
	s_mul_hi_u32 s28, s27, s23
	s_xor_b32 s26, s26, s20
	s_mul_i32 s29, s28, s19
	s_add_i32 s30, s28, 1
	s_sub_i32 s27, s27, s29
	s_delay_alu instid0(SALU_CYCLE_1)
	s_sub_i32 s29, s27, s19
	s_cmp_ge_u32 s27, s19
	s_cselect_b32 s28, s30, s28
	s_cselect_b32 s27, s29, s27
	s_add_i32 s29, s28, 1
	s_cmp_ge_u32 s27, s19
	s_cselect_b32 s27, s29, s28
	s_delay_alu instid0(SALU_CYCLE_1) | instskip(NEXT) | instid1(SALU_CYCLE_1)
	s_xor_b32 s27, s27, s26
	s_sub_i32 s26, s27, s26
	s_delay_alu instid0(SALU_CYCLE_1) | instskip(NEXT) | instid1(SALU_CYCLE_1)
	s_add_i32 s25, s25, s26
	v_mov_b32_e32 v8, s25
	s_mul_i32 s26, s25, s15
	ds_store_b32 v7, v8 offset:8
	ds_store_b32 v9, v10 offset:8
	ds_load_b32 v8, v6 offset:8
	v_mov_b32_e32 v10, s26
	s_waitcnt lgkmcnt(0)
	v_readfirstlane_b32 s26, v8
	s_delay_alu instid0(VALU_DEP_1) | instskip(NEXT) | instid1(SALU_CYCLE_1)
	s_add_i32 s26, s18, s26
	s_abs_i32 s27, s26
	s_ashr_i32 s26, s26, 31
	s_mul_hi_u32 s28, s27, s23
	s_xor_b32 s26, s26, s20
	s_mul_i32 s29, s28, s19
	s_add_i32 s30, s28, 1
	s_sub_i32 s27, s27, s29
	s_delay_alu instid0(SALU_CYCLE_1)
	s_sub_i32 s29, s27, s19
	s_cmp_ge_u32 s27, s19
	s_cselect_b32 s28, s30, s28
	s_cselect_b32 s27, s29, s27
	s_add_i32 s29, s28, 1
	s_cmp_ge_u32 s27, s19
	s_cselect_b32 s27, s29, s28
	s_delay_alu instid0(SALU_CYCLE_1) | instskip(NEXT) | instid1(SALU_CYCLE_1)
	s_xor_b32 s27, s27, s26
	s_sub_i32 s26, s27, s26
	s_delay_alu instid0(SALU_CYCLE_1) | instskip(NEXT) | instid1(SALU_CYCLE_1)
	s_add_i32 s25, s25, s26
	v_mov_b32_e32 v8, s25
	;; [unrolled: 30-line block ×4, first 2 shown]
	s_mul_i32 s26, s25, s15
	ds_store_b32 v7, v8 offset:20
	ds_store_b32 v9, v10 offset:20
	ds_load_b32 v8, v6 offset:20
	s_waitcnt lgkmcnt(0)
	v_readfirstlane_b32 s27, v8
	v_mov_b32_e32 v8, s26
	s_delay_alu instid0(VALU_DEP_2) | instskip(NEXT) | instid1(SALU_CYCLE_1)
	s_add_i32 s26, s18, s27
	s_abs_i32 s27, s26
	s_ashr_i32 s26, s26, 31
	s_mul_hi_u32 s28, s27, s23
	s_xor_b32 s26, s26, s20
	s_mul_i32 s29, s28, s19
	s_add_i32 s30, s28, 1
	s_sub_i32 s27, s27, s29
	s_delay_alu instid0(SALU_CYCLE_1)
	s_sub_i32 s29, s27, s19
	s_cmp_ge_u32 s27, s19
	s_cselect_b32 s28, s30, s28
	s_cselect_b32 s27, s29, s27
	s_add_i32 s29, s28, 1
	s_cmp_ge_u32 s27, s19
	s_cselect_b32 s27, s29, s28
	s_delay_alu instid0(SALU_CYCLE_1) | instskip(NEXT) | instid1(SALU_CYCLE_1)
	s_xor_b32 s27, s27, s26
	s_sub_i32 s26, s27, s26
	s_delay_alu instid0(SALU_CYCLE_1) | instskip(NEXT) | instid1(SALU_CYCLE_1)
	s_add_i32 s25, s25, s26
	v_mov_b32_e32 v10, s25
	s_mul_i32 s27, s25, s15
	ds_store_b32 v7, v10 offset:24
	ds_store_b32 v9, v8 offset:24
	ds_load_b32 v8, v6 offset:24
	s_waitcnt lgkmcnt(0)
	v_readfirstlane_b32 s26, v8
	v_mov_b32_e32 v8, s27
	s_delay_alu instid0(VALU_DEP_2) | instskip(NEXT) | instid1(SALU_CYCLE_1)
	s_add_i32 s26, s18, s26
	s_abs_i32 s27, s26
	s_ashr_i32 s26, s26, 31
	s_mul_hi_u32 s28, s27, s23
	s_xor_b32 s26, s26, s20
	s_mul_i32 s29, s28, s19
	s_add_i32 s30, s28, 1
	s_sub_i32 s27, s27, s29
	s_delay_alu instid0(SALU_CYCLE_1)
	s_sub_i32 s29, s27, s19
	s_cmp_ge_u32 s27, s19
	s_cselect_b32 s28, s30, s28
	s_cselect_b32 s27, s29, s27
	s_add_i32 s29, s28, 1
	s_cmp_ge_u32 s27, s19
	s_cselect_b32 s27, s29, s28
	s_delay_alu instid0(SALU_CYCLE_1) | instskip(NEXT) | instid1(SALU_CYCLE_1)
	s_xor_b32 s27, s27, s26
	s_sub_i32 s26, s27, s26
	s_delay_alu instid0(SALU_CYCLE_1) | instskip(NEXT) | instid1(SALU_CYCLE_1)
	s_add_i32 s25, s25, s26
	v_mov_b32_e32 v10, s25
	s_mul_i32 s27, s25, s15
	ds_store_b32 v7, v10 offset:28
	ds_store_b32 v9, v8 offset:28
	ds_load_b32 v6, v6 offset:28
	s_waitcnt lgkmcnt(0)
	v_readfirstlane_b32 s26, v6
	v_mov_b32_e32 v6, s27
	s_delay_alu instid0(VALU_DEP_2) | instskip(NEXT) | instid1(SALU_CYCLE_1)
	s_add_i32 s26, s18, s26
	s_abs_i32 s27, s26
	s_ashr_i32 s26, s26, 31
	s_mul_hi_u32 s28, s27, s23
	s_xor_b32 s26, s26, s20
	s_mul_i32 s29, s28, s19
	s_add_i32 s30, s28, 1
	s_sub_i32 s27, s27, s29
	s_delay_alu instid0(SALU_CYCLE_1)
	s_sub_i32 s29, s27, s19
	s_cmp_ge_u32 s27, s19
	s_cselect_b32 s28, s30, s28
	s_cselect_b32 s27, s29, s27
	s_add_i32 s29, s28, 1
	s_cmp_ge_u32 s27, s19
	s_cselect_b32 s27, s29, s28
	s_add_i32 s24, s24, 8
	s_xor_b32 s27, s27, s26
	s_add_i32 s21, s21, 32
	s_sub_i32 s26, s27, s26
	s_delay_alu instid0(SALU_CYCLE_1)
	s_add_i32 s25, s25, s26
	s_cmp_eq_u32 s0, s24
	v_mov_b32_e32 v8, s25
	ds_store_b32 v7, v8 offset:32
	ds_store_b32 v9, v6 offset:32
	s_cbranch_scc0 .LBB1_12
.LBB1_13:
	s_and_b32 s19, s14, 7
	s_delay_alu instid0(SALU_CYCLE_1)
	s_cmp_eq_u32 s19, 0
	s_cbranch_scc1 .LBB1_16
; %bb.14:
	s_abs_i32 s20, s15
	s_lshl_b32 s0, s0, 2
	v_cvt_f32_u32_e32 v6, s20
	s_sub_i32 s21, 0, s20
	s_lshl_b32 s14, s14, 3
	s_add_i32 s22, s0, 0
	s_delay_alu instid0(VALU_DEP_1) | instskip(SKIP_2) | instid1(VALU_DEP_1)
	v_rcp_iflag_f32_e32 v6, v6
	s_waitcnt_depctr 0xfff
	v_mul_f32_e32 v6, 0x4f7ffffe, v6
	v_cvt_u32_f32_e32 v6, v6
	s_delay_alu instid0(VALU_DEP_1) | instskip(SKIP_1) | instid1(VALU_DEP_1)
	v_mul_lo_u32 v7, s21, v6
	s_ashr_i32 s21, s15, 31
	v_mul_hi_u32 v7, v6, v7
	s_delay_alu instid0(VALU_DEP_1)
	v_dual_mov_b32 v7, s25 :: v_dual_add_nc_u32 v6, v6, v7
	s_set_inst_prefetch_distance 0x1
	.p2align	6
.LBB1_15:                               ; =>This Inner Loop Header: Depth=1
	v_mov_b32_e32 v8, s22
	s_add_i32 s23, s22, s14
	s_add_i32 s19, s19, -1
	ds_load_b32 v8, v8
	s_waitcnt lgkmcnt(0)
	v_add_nc_u32_e32 v8, s18, v8
	s_delay_alu instid0(VALU_DEP_1) | instskip(NEXT) | instid1(VALU_DEP_1)
	v_sub_nc_u32_e32 v9, 0, v8
	v_max_i32_e32 v9, v8, v9
	s_delay_alu instid0(VALU_DEP_1) | instskip(NEXT) | instid1(VALU_DEP_1)
	v_mul_hi_u32 v10, v9, v6
	v_mul_lo_u32 v11, v10, s20
	v_add_nc_u32_e32 v12, 1, v10
	s_delay_alu instid0(VALU_DEP_2) | instskip(NEXT) | instid1(VALU_DEP_1)
	v_sub_nc_u32_e32 v9, v9, v11
	v_subrev_nc_u32_e32 v11, s20, v9
	v_cmp_le_u32_e64 s0, s20, v9
	s_delay_alu instid0(VALU_DEP_1) | instskip(NEXT) | instid1(VALU_DEP_3)
	v_cndmask_b32_e64 v10, v10, v12, s0
	v_cndmask_b32_e64 v9, v9, v11, s0
	s_delay_alu instid0(VALU_DEP_2) | instskip(NEXT) | instid1(VALU_DEP_2)
	v_add_nc_u32_e32 v11, 1, v10
	v_cmp_le_u32_e64 s0, s20, v9
	s_delay_alu instid0(VALU_DEP_1)
	v_cndmask_b32_e64 v9, v10, v11, s0
	v_mov_b32_e32 v11, s23
	v_ashrrev_i32_e32 v8, 31, v8
	s_add_i32 s0, s22, s17
	s_add_i32 s22, s22, 4
	v_mov_b32_e32 v10, s0
	s_cmp_lg_u32 s19, 0
	v_xor_b32_e32 v8, s21, v8
	s_delay_alu instid0(VALU_DEP_1) | instskip(NEXT) | instid1(VALU_DEP_1)
	v_xor_b32_e32 v9, v9, v8
	v_sub_nc_u32_e32 v8, v9, v8
	v_mul_lo_u32 v9, v7, s15
	s_delay_alu instid0(VALU_DEP_2)
	v_add_nc_u32_e32 v8, v7, v8
	ds_store_b32 v10, v8 offset:4
	ds_store_b32 v11, v9 offset:4
	v_mov_b32_e32 v7, v8
	s_cbranch_scc1 .LBB1_15
.LBB1_16:
	s_set_inst_prefetch_distance 0x2
	v_mov_b32_e32 v6, s3
	ds_load_b32 v6, v6
	s_waitcnt lgkmcnt(0)
	v_mul_lo_u32 v6, v6, s15
	global_store_b32 v5, v6, s[10:11]
.LBB1_17:
	s_or_b32 exec_lo, exec_lo, s16
	s_waitcnt_vscnt null, 0x0
	s_barrier
	buffer_gl0_inv
	s_and_saveexec_b32 s10, s2
	s_cbranch_execz .LBB1_21
; %bb.18:
	v_lshl_add_u32 v5, v0, 2, s1
	ds_load_2addr_b32 v[5:6], v5 offset1:1
	s_waitcnt lgkmcnt(0)
	v_cmp_lt_i32_e64 s0, v5, v6
	s_delay_alu instid0(VALU_DEP_1)
	s_and_b32 exec_lo, exec_lo, s0
	s_cbranch_execz .LBB1_21
; %bb.19:
	v_lshl_add_u32 v9, v0, 2, 0
	v_ashrrev_i32_e32 v8, 31, v5
	v_mov_b32_e32 v7, v5
	s_mov_b32 s2, 0
	ds_load_b32 v11, v9
	v_lshlrev_b64 v[9:10], 2, v[7:8]
	s_delay_alu instid0(VALU_DEP_1) | instskip(NEXT) | instid1(VALU_DEP_1)
	v_add_co_u32 v7, s0, s6, v9
	v_add_co_ci_u32_e64 v8, s0, s7, v10, s0
	v_add_co_u32 v9, s0, s8, v9
	s_delay_alu instid0(VALU_DEP_1)
	v_add_co_ci_u32_e64 v10, s0, s9, v10, s0
	.p2align	6
.LBB1_20:                               ; =>This Inner Loop Header: Depth=1
	v_add_nc_u32_e32 v5, 1, v5
	global_store_b32 v[7:8], v0, off
	s_waitcnt lgkmcnt(0)
	global_store_b32 v[9:10], v11, off
	v_add_co_u32 v7, s0, v7, 4
	s_delay_alu instid0(VALU_DEP_1) | instskip(SKIP_4) | instid1(VALU_DEP_4)
	v_add_co_ci_u32_e64 v8, s0, 0, v8, s0
	v_cmp_ge_i32_e64 s0, v5, v6
	v_add_co_u32 v9, s1, v9, 4
	v_subrev_nc_u32_e32 v11, s15, v11
	v_add_co_ci_u32_e64 v10, s1, 0, v10, s1
	s_or_b32 s2, s0, s2
	s_delay_alu instid0(SALU_CYCLE_1)
	s_and_not1_b32 exec_lo, exec_lo, s2
	s_cbranch_execnz .LBB1_20
.LBB1_21:
	s_or_b32 exec_lo, exec_lo, s10
	s_waitcnt_vscnt null, 0x0
	s_barrier
	buffer_gl0_inv
	s_and_saveexec_b32 s0, vcc_lo
	s_cbranch_execz .LBB1_24
; %bb.22:
	v_mov_b32_e32 v0, 1
	s_add_i32 s3, s3, 4
	s_mov_b32 s0, 0
	.p2align	6
.LBB1_23:                               ; =>This Inner Loop Header: Depth=1
	v_add_co_u32 v5, vcc_lo, s12, v1
	v_add_co_ci_u32_e32 v6, vcc_lo, s13, v2, vcc_lo
	global_load_u8 v2, v[5:6], off
	s_waitcnt vmcnt(0)
	v_lshl_add_u32 v2, v2, 2, s3
	ds_add_rtn_u32 v5, v2, v0
	s_waitcnt lgkmcnt(0)
	v_ashrrev_i32_e32 v6, 31, v5
	s_delay_alu instid0(VALU_DEP_1) | instskip(NEXT) | instid1(VALU_DEP_1)
	v_lshlrev_b64 v[5:6], 2, v[5:6]
	v_add_co_u32 v5, vcc_lo, s4, v5
	s_delay_alu instid0(VALU_DEP_2) | instskip(SKIP_2) | instid1(VALU_DEP_1)
	v_add_co_ci_u32_e32 v6, vcc_lo, s5, v6, vcc_lo
	global_store_b32 v[5:6], v1, off
	v_add_nc_u32_e32 v1, 1, v1
	v_ashrrev_i32_e32 v2, 31, v1
	s_delay_alu instid0(VALU_DEP_1) | instskip(SKIP_1) | instid1(SALU_CYCLE_1)
	v_cmp_le_u64_e32 vcc_lo, v[3:4], v[1:2]
	s_or_b32 s0, vcc_lo, s0
	s_and_not1_b32 exec_lo, exec_lo, s0
	s_cbranch_execnz .LBB1_23
.LBB1_24:
	s_nop 0
	s_sendmsg sendmsg(MSG_DEALLOC_VGPRS)
	s_endpgm
.LBB1_25:
                                        ; implicit-def: $vgpr3_vgpr4
	s_branch .LBB1_2
	.section	.rodata,"a",@progbits
	.p2align	6, 0x0
	.amdhsa_kernel _ZN4vllm27moe_align_block_size_kernelIhEEvPT_PiS3_S3_S3_iim
		.amdhsa_group_segment_fixed_size 0
		.amdhsa_private_segment_fixed_size 0
		.amdhsa_kernarg_size 312
		.amdhsa_user_sgpr_count 15
		.amdhsa_user_sgpr_dispatch_ptr 0
		.amdhsa_user_sgpr_queue_ptr 0
		.amdhsa_user_sgpr_kernarg_segment_ptr 1
		.amdhsa_user_sgpr_dispatch_id 0
		.amdhsa_user_sgpr_private_segment_size 0
		.amdhsa_wavefront_size32 1
		.amdhsa_uses_dynamic_stack 0
		.amdhsa_enable_private_segment 0
		.amdhsa_system_sgpr_workgroup_id_x 1
		.amdhsa_system_sgpr_workgroup_id_y 0
		.amdhsa_system_sgpr_workgroup_id_z 0
		.amdhsa_system_sgpr_workgroup_info 0
		.amdhsa_system_vgpr_workitem_id 0
		.amdhsa_next_free_vgpr 13
		.amdhsa_next_free_sgpr 31
		.amdhsa_reserve_vcc 1
		.amdhsa_float_round_mode_32 0
		.amdhsa_float_round_mode_16_64 0
		.amdhsa_float_denorm_mode_32 3
		.amdhsa_float_denorm_mode_16_64 3
		.amdhsa_dx10_clamp 1
		.amdhsa_ieee_mode 1
		.amdhsa_fp16_overflow 0
		.amdhsa_workgroup_processor_mode 1
		.amdhsa_memory_ordered 1
		.amdhsa_forward_progress 0
		.amdhsa_shared_vgpr_count 0
		.amdhsa_exception_fp_ieee_invalid_op 0
		.amdhsa_exception_fp_denorm_src 0
		.amdhsa_exception_fp_ieee_div_zero 0
		.amdhsa_exception_fp_ieee_overflow 0
		.amdhsa_exception_fp_ieee_underflow 0
		.amdhsa_exception_fp_ieee_inexact 0
		.amdhsa_exception_int_div_zero 0
	.end_amdhsa_kernel
	.section	.text._ZN4vllm27moe_align_block_size_kernelIhEEvPT_PiS3_S3_S3_iim,"axG",@progbits,_ZN4vllm27moe_align_block_size_kernelIhEEvPT_PiS3_S3_S3_iim,comdat
.Lfunc_end1:
	.size	_ZN4vllm27moe_align_block_size_kernelIhEEvPT_PiS3_S3_S3_iim, .Lfunc_end1-_ZN4vllm27moe_align_block_size_kernelIhEEvPT_PiS3_S3_S3_iim
                                        ; -- End function
	.section	.AMDGPU.csdata,"",@progbits
; Kernel info:
; codeLenInByte = 3004
; NumSgprs: 33
; NumVgprs: 13
; ScratchSize: 0
; MemoryBound: 0
; FloatMode: 240
; IeeeMode: 1
; LDSByteSize: 0 bytes/workgroup (compile time only)
; SGPRBlocks: 4
; VGPRBlocks: 1
; NumSGPRsForWavesPerEU: 33
; NumVGPRsForWavesPerEU: 13
; Occupancy: 16
; WaveLimiterHint : 0
; COMPUTE_PGM_RSRC2:SCRATCH_EN: 0
; COMPUTE_PGM_RSRC2:USER_SGPR: 15
; COMPUTE_PGM_RSRC2:TRAP_HANDLER: 0
; COMPUTE_PGM_RSRC2:TGID_X_EN: 1
; COMPUTE_PGM_RSRC2:TGID_Y_EN: 0
; COMPUTE_PGM_RSRC2:TGID_Z_EN: 0
; COMPUTE_PGM_RSRC2:TIDIG_COMP_CNT: 0
	.section	.text._ZN4vllm27moe_align_block_size_kernelIaEEvPT_PiS3_S3_S3_iim,"axG",@progbits,_ZN4vllm27moe_align_block_size_kernelIaEEvPT_PiS3_S3_S3_iim,comdat
	.protected	_ZN4vllm27moe_align_block_size_kernelIaEEvPT_PiS3_S3_S3_iim ; -- Begin function _ZN4vllm27moe_align_block_size_kernelIaEEvPT_PiS3_S3_S3_iim
	.globl	_ZN4vllm27moe_align_block_size_kernelIaEEvPT_PiS3_S3_S3_iim
	.p2align	8
	.type	_ZN4vllm27moe_align_block_size_kernelIaEEvPT_PiS3_S3_S3_iim,@function
_ZN4vllm27moe_align_block_size_kernelIaEEvPT_PiS3_S3_S3_iim: ; @_ZN4vllm27moe_align_block_size_kernelIaEEvPT_PiS3_S3_S3_iim
; %bb.0:
	s_clause 0x1
	s_load_b32 s2, s[0:1], 0x44
	s_load_b64 s[4:5], s[0:1], 0x30
	s_mov_b32 s6, 0
	s_waitcnt lgkmcnt(0)
	s_and_b32 s3, s2, 0xffff
	s_delay_alu instid0(SALU_CYCLE_1) | instskip(SKIP_3) | instid1(SALU_CYCLE_1)
	s_add_u32 s2, s4, s3
	s_addc_u32 s7, s5, 0
	s_add_u32 s8, s2, -1
	s_addc_u32 s7, s7, -1
	s_cmp_lg_u64 s[6:7], 0
	s_cbranch_scc0 .LBB2_25
; %bb.1:
	v_cvt_f32_u32_e32 v1, s3
	s_sub_u32 s10, 0, s3
	s_subb_u32 s11, 0, 0
	s_delay_alu instid0(VALU_DEP_1) | instskip(NEXT) | instid1(VALU_DEP_1)
	v_fmamk_f32 v1, 0, 0x4f800000, v1
	v_rcp_f32_e32 v1, v1
	s_waitcnt_depctr 0xfff
	v_mul_f32_e32 v1, 0x5f7ffffc, v1
	s_delay_alu instid0(VALU_DEP_1) | instskip(NEXT) | instid1(VALU_DEP_1)
	v_mul_f32_e32 v2, 0x2f800000, v1
	v_trunc_f32_e32 v2, v2
	s_delay_alu instid0(VALU_DEP_1) | instskip(SKIP_1) | instid1(VALU_DEP_2)
	v_fmamk_f32 v1, v2, 0xcf800000, v1
	v_cvt_u32_f32_e32 v2, v2
	v_cvt_u32_f32_e32 v1, v1
	s_delay_alu instid0(VALU_DEP_2) | instskip(NEXT) | instid1(VALU_DEP_2)
	v_readfirstlane_b32 s2, v2
	v_readfirstlane_b32 s9, v1
	s_delay_alu instid0(VALU_DEP_2) | instskip(NEXT) | instid1(VALU_DEP_1)
	s_mul_i32 s12, s10, s2
	s_mul_hi_u32 s14, s10, s9
	s_mul_i32 s13, s11, s9
	s_add_i32 s12, s14, s12
	s_mul_i32 s15, s10, s9
	s_add_i32 s12, s12, s13
	s_mul_hi_u32 s14, s9, s15
	s_mul_hi_u32 s16, s2, s15
	s_mul_i32 s13, s2, s15
	s_mul_hi_u32 s15, s9, s12
	s_mul_i32 s9, s9, s12
	s_mul_hi_u32 s17, s2, s12
	s_add_u32 s9, s14, s9
	s_addc_u32 s14, 0, s15
	s_add_u32 s9, s9, s13
	s_mul_i32 s12, s2, s12
	s_addc_u32 s9, s14, s16
	s_addc_u32 s13, s17, 0
	s_add_u32 s9, s9, s12
	s_addc_u32 s12, 0, s13
	v_add_co_u32 v1, s9, v1, s9
	s_delay_alu instid0(VALU_DEP_1) | instskip(SKIP_1) | instid1(VALU_DEP_1)
	s_cmp_lg_u32 s9, 0
	s_addc_u32 s2, s2, s12
	v_readfirstlane_b32 s9, v1
	s_mul_i32 s12, s10, s2
	s_delay_alu instid0(VALU_DEP_1)
	s_mul_hi_u32 s13, s10, s9
	s_mul_i32 s11, s11, s9
	s_add_i32 s12, s13, s12
	s_mul_i32 s10, s10, s9
	s_add_i32 s12, s12, s11
	s_mul_hi_u32 s13, s2, s10
	s_mul_i32 s14, s2, s10
	s_mul_hi_u32 s10, s9, s10
	s_mul_hi_u32 s15, s9, s12
	s_mul_i32 s9, s9, s12
	s_mul_hi_u32 s11, s2, s12
	s_add_u32 s9, s10, s9
	s_addc_u32 s10, 0, s15
	s_add_u32 s9, s9, s14
	s_mul_i32 s12, s2, s12
	s_addc_u32 s9, s10, s13
	s_addc_u32 s10, s11, 0
	s_add_u32 s9, s9, s12
	s_addc_u32 s10, 0, s10
	v_add_co_u32 v1, s9, v1, s9
	s_delay_alu instid0(VALU_DEP_1) | instskip(SKIP_1) | instid1(VALU_DEP_1)
	s_cmp_lg_u32 s9, 0
	s_addc_u32 s2, s2, s10
	v_readfirstlane_b32 s9, v1
	s_mul_i32 s11, s8, s2
	s_mul_hi_u32 s10, s8, s2
	s_mul_hi_u32 s12, s7, s2
	s_mul_i32 s2, s7, s2
	s_mul_hi_u32 s13, s8, s9
	s_mul_hi_u32 s14, s7, s9
	s_mul_i32 s9, s7, s9
	s_add_u32 s11, s13, s11
	s_addc_u32 s10, 0, s10
	s_add_u32 s9, s11, s9
	s_addc_u32 s9, s10, s14
	s_addc_u32 s10, s12, 0
	s_add_u32 s9, s9, s2
	s_addc_u32 s10, 0, s10
	s_mul_i32 s12, s3, s9
	s_add_u32 s11, s9, 1
	v_sub_co_u32 v1, s12, s8, s12
	s_mul_hi_u32 s2, s3, s9
	s_addc_u32 s13, s10, 0
	s_mul_i32 s14, s3, s10
	s_add_u32 s15, s9, 2
	s_addc_u32 s16, s10, 0
	v_mov_b32_e32 v3, s15
	s_add_i32 s2, s2, s14
	s_cmp_lg_u32 s12, 0
	v_sub_co_u32 v2, s12, v1, s3
	s_subb_u32 s2, s7, s2
	s_cmp_lg_u32 s12, 0
	v_mov_b32_e32 v4, s16
	s_delay_alu instid0(VALU_DEP_2) | instskip(SKIP_1) | instid1(SALU_CYCLE_1)
	v_cmp_le_u32_e32 vcc_lo, s3, v2
	s_subb_u32 s7, s2, 0
	s_cmp_eq_u32 s7, 0
	v_cndmask_b32_e64 v2, 0, -1, vcc_lo
	s_cselect_b32 vcc_lo, -1, 0
	s_cmp_eq_u32 s2, 0
	s_cselect_b32 s2, -1, 0
	s_delay_alu instid0(VALU_DEP_1) | instskip(SKIP_2) | instid1(VALU_DEP_3)
	v_cndmask_b32_e32 v2, -1, v2, vcc_lo
	v_cmp_le_u32_e32 vcc_lo, s3, v1
	v_cndmask_b32_e64 v1, 0, -1, vcc_lo
	v_cmp_ne_u32_e32 vcc_lo, 0, v2
	s_delay_alu instid0(VALU_DEP_2) | instskip(SKIP_2) | instid1(VALU_DEP_3)
	v_cndmask_b32_e64 v1, -1, v1, s2
	v_cndmask_b32_e32 v2, s11, v3, vcc_lo
	v_cndmask_b32_e32 v3, s13, v4, vcc_lo
	v_cmp_ne_u32_e32 vcc_lo, 0, v1
	s_delay_alu instid0(VALU_DEP_2) | instskip(NEXT) | instid1(VALU_DEP_4)
	v_cndmask_b32_e32 v4, s10, v3, vcc_lo
	v_cndmask_b32_e32 v3, s9, v2, vcc_lo
	s_and_not1_b32 vcc_lo, exec_lo, s6
	s_cbranch_vccnz .LBB2_3
.LBB2_2:
	v_cvt_f32_u32_e32 v1, s3
	s_sub_i32 s6, 0, s3
	s_delay_alu instid0(VALU_DEP_1) | instskip(SKIP_2) | instid1(VALU_DEP_1)
	v_rcp_iflag_f32_e32 v1, v1
	s_waitcnt_depctr 0xfff
	v_mul_f32_e32 v1, 0x4f7ffffe, v1
	v_cvt_u32_f32_e32 v1, v1
	s_delay_alu instid0(VALU_DEP_1) | instskip(NEXT) | instid1(VALU_DEP_1)
	v_readfirstlane_b32 s2, v1
	s_mul_i32 s6, s6, s2
	s_delay_alu instid0(SALU_CYCLE_1) | instskip(NEXT) | instid1(SALU_CYCLE_1)
	s_mul_hi_u32 s6, s2, s6
	s_add_i32 s2, s2, s6
	s_delay_alu instid0(SALU_CYCLE_1) | instskip(NEXT) | instid1(SALU_CYCLE_1)
	s_mul_hi_u32 s2, s8, s2
	s_mul_i32 s6, s2, s3
	s_add_i32 s7, s2, 1
	s_sub_i32 s6, s8, s6
	s_delay_alu instid0(SALU_CYCLE_1)
	s_sub_i32 s8, s6, s3
	s_cmp_ge_u32 s6, s3
	s_cselect_b32 s2, s7, s2
	s_cselect_b32 s6, s8, s6
	s_add_i32 s7, s2, 1
	s_cmp_ge_u32 s6, s3
	s_mov_b32 s3, 0
	s_cselect_b32 s2, s7, s2
	s_delay_alu instid0(SALU_CYCLE_1)
	v_dual_mov_b32 v4, s3 :: v_dual_mov_b32 v3, s2
.LBB2_3:
	s_clause 0x1
	s_load_b64 s[14:15], s[0:1], 0x28
	s_load_b64 s[12:13], s[0:1], 0x0
	s_waitcnt lgkmcnt(0)
	v_cmp_gt_u32_e64 s2, s14, v0
	s_delay_alu instid0(VALU_DEP_1)
	s_and_saveexec_b32 s3, s2
	s_cbranch_execz .LBB2_5
; %bb.4:
	v_lshl_add_u32 v1, v0, 2, 0
	v_mov_b32_e32 v2, 0
	ds_store_b32 v1, v2
.LBB2_5:
	s_or_b32 exec_lo, exec_lo, s3
	v_mad_u64_u32 v[1:2], null, v3, v0, 0
	s_waitcnt lgkmcnt(0)
	s_barrier
	buffer_gl0_inv
	v_mad_u64_u32 v[5:6], null, v4, v0, v[2:3]
	v_add_co_u32 v2, vcc_lo, v1, v3
	s_delay_alu instid0(VALU_DEP_2) | instskip(NEXT) | instid1(VALU_DEP_1)
	v_add_co_ci_u32_e32 v3, vcc_lo, v5, v4, vcc_lo
	v_cmp_lt_u64_e32 vcc_lo, s[4:5], v[2:3]
	v_cndmask_b32_e64 v4, v3, s5, vcc_lo
	v_cndmask_b32_e64 v3, v2, s4, vcc_lo
	v_ashrrev_i32_e32 v2, 31, v1
	s_delay_alu instid0(VALU_DEP_1)
	v_cmp_lt_u64_e32 vcc_lo, v[1:2], v[3:4]
	s_and_saveexec_b32 s4, vcc_lo
	s_cbranch_execz .LBB2_8
; %bb.6:
	v_dual_mov_b32 v7, 1 :: v_dual_mov_b32 v6, v2
	v_mov_b32_e32 v5, v1
	v_mov_b32_e32 v8, v1
	s_mov_b32 s5, 0
	.p2align	6
.LBB2_7:                                ; =>This Inner Loop Header: Depth=1
	s_delay_alu instid0(VALU_DEP_2) | instskip(NEXT) | instid1(VALU_DEP_1)
	v_add_co_u32 v5, s3, s12, v5
	v_add_co_ci_u32_e64 v6, s3, s13, v6, s3
	global_load_i8 v5, v[5:6], off
	s_waitcnt vmcnt(0)
	v_lshl_add_u32 v5, v5, 2, 0
	ds_add_u32 v5, v7
	v_add_nc_u32_e32 v5, 1, v8
	s_delay_alu instid0(VALU_DEP_1) | instskip(SKIP_1) | instid1(VALU_DEP_2)
	v_ashrrev_i32_e32 v6, 31, v5
	v_mov_b32_e32 v8, v5
	v_cmp_le_u64_e64 s3, v[3:4], v[5:6]
	s_delay_alu instid0(VALU_DEP_1) | instskip(NEXT) | instid1(SALU_CYCLE_1)
	s_or_b32 s5, s3, s5
	s_and_not1_b32 exec_lo, exec_lo, s5
	s_cbranch_execnz .LBB2_7
.LBB2_8:
	s_or_b32 exec_lo, exec_lo, s4
	s_load_b256 s[4:11], s[0:1], 0x8
	s_lshl_b32 s17, s14, 2
	s_mov_b32 s16, exec_lo
	s_add_i32 s1, s17, 0
	s_waitcnt lgkmcnt(0)
	s_add_i32 s3, s1, s17
	s_barrier
	buffer_gl0_inv
	v_cmpx_eq_u32_e32 0, v0
	s_cbranch_execz .LBB2_17
; %bb.9:
	v_dual_mov_b32 v5, 0 :: v_dual_mov_b32 v6, s1
	s_cmp_lt_i32 s14, 1
	ds_store_b32 v6, v5
	s_cbranch_scc1 .LBB2_16
; %bb.10:
	s_add_i32 s18, s15, -1
	s_mov_b32 s0, 0
	s_cmp_lt_u32 s14, 8
	s_mov_b32 s25, 0
	s_cbranch_scc1 .LBB2_13
; %bb.11:
	s_abs_i32 s19, s15
	s_and_b32 s0, s14, 0x7ffffff8
	v_cvt_f32_u32_e32 v6, s19
	s_sub_i32 s22, 0, s19
	s_ashr_i32 s20, s15, 31
	s_mov_b32 s21, 0
	s_delay_alu instid0(VALU_DEP_1) | instskip(SKIP_2) | instid1(VALU_DEP_1)
	v_rcp_iflag_f32_e32 v6, v6
	s_waitcnt_depctr 0xfff
	v_mul_f32_e32 v6, 0x4f7ffffe, v6
	v_cvt_u32_f32_e32 v6, v6
	s_delay_alu instid0(VALU_DEP_1) | instskip(NEXT) | instid1(VALU_DEP_1)
	v_readfirstlane_b32 s23, v6
	s_mul_i32 s24, s22, s23
	s_lshl_b32 s22, s14, 3
	s_mul_hi_u32 s24, s23, s24
	s_delay_alu instid0(SALU_CYCLE_1)
	s_add_i32 s23, s23, s24
	s_mov_b32 s24, 0
.LBB2_12:                               ; =>This Inner Loop Header: Depth=1
	v_mov_b32_e32 v6, s21
	s_mul_i32 s26, s25, s15
	s_delay_alu instid0(SALU_CYCLE_1) | instskip(SKIP_3) | instid1(VALU_DEP_1)
	v_mov_b32_e32 v8, s26
	ds_load_b32 v7, v6
	s_waitcnt lgkmcnt(0)
	v_readfirstlane_b32 s26, v7
	s_add_i32 s26, s18, s26
	s_delay_alu instid0(SALU_CYCLE_1)
	s_abs_i32 s27, s26
	s_ashr_i32 s26, s26, 31
	s_mul_hi_u32 s28, s27, s23
	s_xor_b32 s26, s26, s20
	s_mul_i32 s29, s28, s19
	s_add_i32 s30, s28, 1
	s_sub_i32 s27, s27, s29
	s_delay_alu instid0(SALU_CYCLE_1)
	s_sub_i32 s29, s27, s19
	s_cmp_ge_u32 s27, s19
	s_cselect_b32 s28, s30, s28
	s_cselect_b32 s27, s29, s27
	s_add_i32 s29, s28, 1
	s_cmp_ge_u32 s27, s19
	s_cselect_b32 s27, s29, s28
	s_add_i32 s28, s21, s17
	s_xor_b32 s27, s27, s26
	s_add_i32 s29, s21, s22
	s_sub_i32 s26, s27, s26
	v_mov_b32_e32 v9, s29
	s_add_i32 s25, s25, s26
	s_delay_alu instid0(SALU_CYCLE_1)
	v_dual_mov_b32 v7, s28 :: v_dual_mov_b32 v10, s25
	s_mul_i32 s26, s25, s15
	ds_store_b32 v7, v10 offset:4
	ds_store_b32 v9, v8 offset:4
	ds_load_b32 v8, v6 offset:4
	v_mov_b32_e32 v10, s26
	s_waitcnt lgkmcnt(0)
	v_readfirstlane_b32 s26, v8
	s_delay_alu instid0(VALU_DEP_1) | instskip(NEXT) | instid1(SALU_CYCLE_1)
	s_add_i32 s26, s18, s26
	s_abs_i32 s27, s26
	s_ashr_i32 s26, s26, 31
	s_mul_hi_u32 s28, s27, s23
	s_xor_b32 s26, s26, s20
	s_mul_i32 s29, s28, s19
	s_add_i32 s30, s28, 1
	s_sub_i32 s27, s27, s29
	s_delay_alu instid0(SALU_CYCLE_1)
	s_sub_i32 s29, s27, s19
	s_cmp_ge_u32 s27, s19
	s_cselect_b32 s28, s30, s28
	s_cselect_b32 s27, s29, s27
	s_add_i32 s29, s28, 1
	s_cmp_ge_u32 s27, s19
	s_cselect_b32 s27, s29, s28
	s_delay_alu instid0(SALU_CYCLE_1) | instskip(NEXT) | instid1(SALU_CYCLE_1)
	s_xor_b32 s27, s27, s26
	s_sub_i32 s26, s27, s26
	s_delay_alu instid0(SALU_CYCLE_1) | instskip(NEXT) | instid1(SALU_CYCLE_1)
	s_add_i32 s25, s25, s26
	v_mov_b32_e32 v8, s25
	s_mul_i32 s26, s25, s15
	ds_store_b32 v7, v8 offset:8
	ds_store_b32 v9, v10 offset:8
	ds_load_b32 v8, v6 offset:8
	v_mov_b32_e32 v10, s26
	s_waitcnt lgkmcnt(0)
	v_readfirstlane_b32 s26, v8
	s_delay_alu instid0(VALU_DEP_1) | instskip(NEXT) | instid1(SALU_CYCLE_1)
	s_add_i32 s26, s18, s26
	s_abs_i32 s27, s26
	s_ashr_i32 s26, s26, 31
	s_mul_hi_u32 s28, s27, s23
	s_xor_b32 s26, s26, s20
	s_mul_i32 s29, s28, s19
	s_add_i32 s30, s28, 1
	s_sub_i32 s27, s27, s29
	s_delay_alu instid0(SALU_CYCLE_1)
	s_sub_i32 s29, s27, s19
	s_cmp_ge_u32 s27, s19
	s_cselect_b32 s28, s30, s28
	s_cselect_b32 s27, s29, s27
	s_add_i32 s29, s28, 1
	s_cmp_ge_u32 s27, s19
	s_cselect_b32 s27, s29, s28
	s_delay_alu instid0(SALU_CYCLE_1) | instskip(NEXT) | instid1(SALU_CYCLE_1)
	s_xor_b32 s27, s27, s26
	s_sub_i32 s26, s27, s26
	s_delay_alu instid0(SALU_CYCLE_1) | instskip(NEXT) | instid1(SALU_CYCLE_1)
	s_add_i32 s25, s25, s26
	v_mov_b32_e32 v8, s25
	;; [unrolled: 30-line block ×4, first 2 shown]
	s_mul_i32 s26, s25, s15
	ds_store_b32 v7, v8 offset:20
	ds_store_b32 v9, v10 offset:20
	ds_load_b32 v8, v6 offset:20
	s_waitcnt lgkmcnt(0)
	v_readfirstlane_b32 s27, v8
	v_mov_b32_e32 v8, s26
	s_delay_alu instid0(VALU_DEP_2) | instskip(NEXT) | instid1(SALU_CYCLE_1)
	s_add_i32 s26, s18, s27
	s_abs_i32 s27, s26
	s_ashr_i32 s26, s26, 31
	s_mul_hi_u32 s28, s27, s23
	s_xor_b32 s26, s26, s20
	s_mul_i32 s29, s28, s19
	s_add_i32 s30, s28, 1
	s_sub_i32 s27, s27, s29
	s_delay_alu instid0(SALU_CYCLE_1)
	s_sub_i32 s29, s27, s19
	s_cmp_ge_u32 s27, s19
	s_cselect_b32 s28, s30, s28
	s_cselect_b32 s27, s29, s27
	s_add_i32 s29, s28, 1
	s_cmp_ge_u32 s27, s19
	s_cselect_b32 s27, s29, s28
	s_delay_alu instid0(SALU_CYCLE_1) | instskip(NEXT) | instid1(SALU_CYCLE_1)
	s_xor_b32 s27, s27, s26
	s_sub_i32 s26, s27, s26
	s_delay_alu instid0(SALU_CYCLE_1) | instskip(NEXT) | instid1(SALU_CYCLE_1)
	s_add_i32 s25, s25, s26
	v_mov_b32_e32 v10, s25
	s_mul_i32 s27, s25, s15
	ds_store_b32 v7, v10 offset:24
	ds_store_b32 v9, v8 offset:24
	ds_load_b32 v8, v6 offset:24
	s_waitcnt lgkmcnt(0)
	v_readfirstlane_b32 s26, v8
	v_mov_b32_e32 v8, s27
	s_delay_alu instid0(VALU_DEP_2) | instskip(NEXT) | instid1(SALU_CYCLE_1)
	s_add_i32 s26, s18, s26
	s_abs_i32 s27, s26
	s_ashr_i32 s26, s26, 31
	s_mul_hi_u32 s28, s27, s23
	s_xor_b32 s26, s26, s20
	s_mul_i32 s29, s28, s19
	s_add_i32 s30, s28, 1
	s_sub_i32 s27, s27, s29
	s_delay_alu instid0(SALU_CYCLE_1)
	s_sub_i32 s29, s27, s19
	s_cmp_ge_u32 s27, s19
	s_cselect_b32 s28, s30, s28
	s_cselect_b32 s27, s29, s27
	s_add_i32 s29, s28, 1
	s_cmp_ge_u32 s27, s19
	s_cselect_b32 s27, s29, s28
	s_delay_alu instid0(SALU_CYCLE_1) | instskip(NEXT) | instid1(SALU_CYCLE_1)
	s_xor_b32 s27, s27, s26
	s_sub_i32 s26, s27, s26
	s_delay_alu instid0(SALU_CYCLE_1) | instskip(NEXT) | instid1(SALU_CYCLE_1)
	s_add_i32 s25, s25, s26
	v_mov_b32_e32 v10, s25
	s_mul_i32 s27, s25, s15
	ds_store_b32 v7, v10 offset:28
	ds_store_b32 v9, v8 offset:28
	ds_load_b32 v6, v6 offset:28
	s_waitcnt lgkmcnt(0)
	v_readfirstlane_b32 s26, v6
	v_mov_b32_e32 v6, s27
	s_delay_alu instid0(VALU_DEP_2) | instskip(NEXT) | instid1(SALU_CYCLE_1)
	s_add_i32 s26, s18, s26
	s_abs_i32 s27, s26
	s_ashr_i32 s26, s26, 31
	s_mul_hi_u32 s28, s27, s23
	s_xor_b32 s26, s26, s20
	s_mul_i32 s29, s28, s19
	s_add_i32 s30, s28, 1
	s_sub_i32 s27, s27, s29
	s_delay_alu instid0(SALU_CYCLE_1)
	s_sub_i32 s29, s27, s19
	s_cmp_ge_u32 s27, s19
	s_cselect_b32 s28, s30, s28
	s_cselect_b32 s27, s29, s27
	s_add_i32 s29, s28, 1
	s_cmp_ge_u32 s27, s19
	s_cselect_b32 s27, s29, s28
	s_add_i32 s24, s24, 8
	s_xor_b32 s27, s27, s26
	s_add_i32 s21, s21, 32
	s_sub_i32 s26, s27, s26
	s_delay_alu instid0(SALU_CYCLE_1)
	s_add_i32 s25, s25, s26
	s_cmp_eq_u32 s0, s24
	v_mov_b32_e32 v8, s25
	ds_store_b32 v7, v8 offset:32
	ds_store_b32 v9, v6 offset:32
	s_cbranch_scc0 .LBB2_12
.LBB2_13:
	s_and_b32 s19, s14, 7
	s_delay_alu instid0(SALU_CYCLE_1)
	s_cmp_eq_u32 s19, 0
	s_cbranch_scc1 .LBB2_16
; %bb.14:
	s_abs_i32 s20, s15
	s_lshl_b32 s0, s0, 2
	v_cvt_f32_u32_e32 v6, s20
	s_sub_i32 s21, 0, s20
	s_lshl_b32 s14, s14, 3
	s_add_i32 s22, s0, 0
	s_delay_alu instid0(VALU_DEP_1) | instskip(SKIP_2) | instid1(VALU_DEP_1)
	v_rcp_iflag_f32_e32 v6, v6
	s_waitcnt_depctr 0xfff
	v_mul_f32_e32 v6, 0x4f7ffffe, v6
	v_cvt_u32_f32_e32 v6, v6
	s_delay_alu instid0(VALU_DEP_1) | instskip(SKIP_1) | instid1(VALU_DEP_1)
	v_mul_lo_u32 v7, s21, v6
	s_ashr_i32 s21, s15, 31
	v_mul_hi_u32 v7, v6, v7
	s_delay_alu instid0(VALU_DEP_1)
	v_dual_mov_b32 v7, s25 :: v_dual_add_nc_u32 v6, v6, v7
	s_set_inst_prefetch_distance 0x1
	.p2align	6
.LBB2_15:                               ; =>This Inner Loop Header: Depth=1
	v_mov_b32_e32 v8, s22
	s_add_i32 s23, s22, s14
	s_add_i32 s19, s19, -1
	ds_load_b32 v8, v8
	s_waitcnt lgkmcnt(0)
	v_add_nc_u32_e32 v8, s18, v8
	s_delay_alu instid0(VALU_DEP_1) | instskip(NEXT) | instid1(VALU_DEP_1)
	v_sub_nc_u32_e32 v9, 0, v8
	v_max_i32_e32 v9, v8, v9
	s_delay_alu instid0(VALU_DEP_1) | instskip(NEXT) | instid1(VALU_DEP_1)
	v_mul_hi_u32 v10, v9, v6
	v_mul_lo_u32 v11, v10, s20
	v_add_nc_u32_e32 v12, 1, v10
	s_delay_alu instid0(VALU_DEP_2) | instskip(NEXT) | instid1(VALU_DEP_1)
	v_sub_nc_u32_e32 v9, v9, v11
	v_subrev_nc_u32_e32 v11, s20, v9
	v_cmp_le_u32_e64 s0, s20, v9
	s_delay_alu instid0(VALU_DEP_1) | instskip(NEXT) | instid1(VALU_DEP_3)
	v_cndmask_b32_e64 v10, v10, v12, s0
	v_cndmask_b32_e64 v9, v9, v11, s0
	s_delay_alu instid0(VALU_DEP_2) | instskip(NEXT) | instid1(VALU_DEP_2)
	v_add_nc_u32_e32 v11, 1, v10
	v_cmp_le_u32_e64 s0, s20, v9
	s_delay_alu instid0(VALU_DEP_1)
	v_cndmask_b32_e64 v9, v10, v11, s0
	v_mov_b32_e32 v11, s23
	v_ashrrev_i32_e32 v8, 31, v8
	s_add_i32 s0, s22, s17
	s_add_i32 s22, s22, 4
	v_mov_b32_e32 v10, s0
	s_cmp_lg_u32 s19, 0
	v_xor_b32_e32 v8, s21, v8
	s_delay_alu instid0(VALU_DEP_1) | instskip(NEXT) | instid1(VALU_DEP_1)
	v_xor_b32_e32 v9, v9, v8
	v_sub_nc_u32_e32 v8, v9, v8
	v_mul_lo_u32 v9, v7, s15
	s_delay_alu instid0(VALU_DEP_2)
	v_add_nc_u32_e32 v8, v7, v8
	ds_store_b32 v10, v8 offset:4
	ds_store_b32 v11, v9 offset:4
	v_mov_b32_e32 v7, v8
	s_cbranch_scc1 .LBB2_15
.LBB2_16:
	s_set_inst_prefetch_distance 0x2
	v_mov_b32_e32 v6, s3
	ds_load_b32 v6, v6
	s_waitcnt lgkmcnt(0)
	v_mul_lo_u32 v6, v6, s15
	global_store_b32 v5, v6, s[10:11]
.LBB2_17:
	s_or_b32 exec_lo, exec_lo, s16
	s_waitcnt_vscnt null, 0x0
	s_barrier
	buffer_gl0_inv
	s_and_saveexec_b32 s10, s2
	s_cbranch_execz .LBB2_21
; %bb.18:
	v_lshl_add_u32 v5, v0, 2, s1
	ds_load_2addr_b32 v[5:6], v5 offset1:1
	s_waitcnt lgkmcnt(0)
	v_cmp_lt_i32_e64 s0, v5, v6
	s_delay_alu instid0(VALU_DEP_1)
	s_and_b32 exec_lo, exec_lo, s0
	s_cbranch_execz .LBB2_21
; %bb.19:
	v_lshl_add_u32 v9, v0, 2, 0
	v_ashrrev_i32_e32 v8, 31, v5
	v_mov_b32_e32 v7, v5
	s_mov_b32 s2, 0
	ds_load_b32 v11, v9
	v_lshlrev_b64 v[9:10], 2, v[7:8]
	s_delay_alu instid0(VALU_DEP_1) | instskip(NEXT) | instid1(VALU_DEP_1)
	v_add_co_u32 v7, s0, s6, v9
	v_add_co_ci_u32_e64 v8, s0, s7, v10, s0
	v_add_co_u32 v9, s0, s8, v9
	s_delay_alu instid0(VALU_DEP_1)
	v_add_co_ci_u32_e64 v10, s0, s9, v10, s0
	.p2align	6
.LBB2_20:                               ; =>This Inner Loop Header: Depth=1
	v_add_nc_u32_e32 v5, 1, v5
	global_store_b32 v[7:8], v0, off
	s_waitcnt lgkmcnt(0)
	global_store_b32 v[9:10], v11, off
	v_add_co_u32 v7, s0, v7, 4
	s_delay_alu instid0(VALU_DEP_1) | instskip(SKIP_4) | instid1(VALU_DEP_4)
	v_add_co_ci_u32_e64 v8, s0, 0, v8, s0
	v_cmp_ge_i32_e64 s0, v5, v6
	v_add_co_u32 v9, s1, v9, 4
	v_subrev_nc_u32_e32 v11, s15, v11
	v_add_co_ci_u32_e64 v10, s1, 0, v10, s1
	s_or_b32 s2, s0, s2
	s_delay_alu instid0(SALU_CYCLE_1)
	s_and_not1_b32 exec_lo, exec_lo, s2
	s_cbranch_execnz .LBB2_20
.LBB2_21:
	s_or_b32 exec_lo, exec_lo, s10
	s_waitcnt_vscnt null, 0x0
	s_barrier
	buffer_gl0_inv
	s_and_saveexec_b32 s0, vcc_lo
	s_cbranch_execz .LBB2_24
; %bb.22:
	v_mov_b32_e32 v0, 1
	s_add_i32 s3, s3, 4
	s_mov_b32 s0, 0
	.p2align	6
.LBB2_23:                               ; =>This Inner Loop Header: Depth=1
	v_add_co_u32 v5, vcc_lo, s12, v1
	v_add_co_ci_u32_e32 v6, vcc_lo, s13, v2, vcc_lo
	global_load_i8 v2, v[5:6], off
	s_waitcnt vmcnt(0)
	v_lshl_add_u32 v2, v2, 2, s3
	ds_add_rtn_u32 v5, v2, v0
	s_waitcnt lgkmcnt(0)
	v_ashrrev_i32_e32 v6, 31, v5
	s_delay_alu instid0(VALU_DEP_1) | instskip(NEXT) | instid1(VALU_DEP_1)
	v_lshlrev_b64 v[5:6], 2, v[5:6]
	v_add_co_u32 v5, vcc_lo, s4, v5
	s_delay_alu instid0(VALU_DEP_2) | instskip(SKIP_2) | instid1(VALU_DEP_1)
	v_add_co_ci_u32_e32 v6, vcc_lo, s5, v6, vcc_lo
	global_store_b32 v[5:6], v1, off
	v_add_nc_u32_e32 v1, 1, v1
	v_ashrrev_i32_e32 v2, 31, v1
	s_delay_alu instid0(VALU_DEP_1) | instskip(SKIP_1) | instid1(SALU_CYCLE_1)
	v_cmp_le_u64_e32 vcc_lo, v[3:4], v[1:2]
	s_or_b32 s0, vcc_lo, s0
	s_and_not1_b32 exec_lo, exec_lo, s0
	s_cbranch_execnz .LBB2_23
.LBB2_24:
	s_nop 0
	s_sendmsg sendmsg(MSG_DEALLOC_VGPRS)
	s_endpgm
.LBB2_25:
                                        ; implicit-def: $vgpr3_vgpr4
	s_branch .LBB2_2
	.section	.rodata,"a",@progbits
	.p2align	6, 0x0
	.amdhsa_kernel _ZN4vllm27moe_align_block_size_kernelIaEEvPT_PiS3_S3_S3_iim
		.amdhsa_group_segment_fixed_size 0
		.amdhsa_private_segment_fixed_size 0
		.amdhsa_kernarg_size 312
		.amdhsa_user_sgpr_count 15
		.amdhsa_user_sgpr_dispatch_ptr 0
		.amdhsa_user_sgpr_queue_ptr 0
		.amdhsa_user_sgpr_kernarg_segment_ptr 1
		.amdhsa_user_sgpr_dispatch_id 0
		.amdhsa_user_sgpr_private_segment_size 0
		.amdhsa_wavefront_size32 1
		.amdhsa_uses_dynamic_stack 0
		.amdhsa_enable_private_segment 0
		.amdhsa_system_sgpr_workgroup_id_x 1
		.amdhsa_system_sgpr_workgroup_id_y 0
		.amdhsa_system_sgpr_workgroup_id_z 0
		.amdhsa_system_sgpr_workgroup_info 0
		.amdhsa_system_vgpr_workitem_id 0
		.amdhsa_next_free_vgpr 13
		.amdhsa_next_free_sgpr 31
		.amdhsa_reserve_vcc 1
		.amdhsa_float_round_mode_32 0
		.amdhsa_float_round_mode_16_64 0
		.amdhsa_float_denorm_mode_32 3
		.amdhsa_float_denorm_mode_16_64 3
		.amdhsa_dx10_clamp 1
		.amdhsa_ieee_mode 1
		.amdhsa_fp16_overflow 0
		.amdhsa_workgroup_processor_mode 1
		.amdhsa_memory_ordered 1
		.amdhsa_forward_progress 0
		.amdhsa_shared_vgpr_count 0
		.amdhsa_exception_fp_ieee_invalid_op 0
		.amdhsa_exception_fp_denorm_src 0
		.amdhsa_exception_fp_ieee_div_zero 0
		.amdhsa_exception_fp_ieee_overflow 0
		.amdhsa_exception_fp_ieee_underflow 0
		.amdhsa_exception_fp_ieee_inexact 0
		.amdhsa_exception_int_div_zero 0
	.end_amdhsa_kernel
	.section	.text._ZN4vllm27moe_align_block_size_kernelIaEEvPT_PiS3_S3_S3_iim,"axG",@progbits,_ZN4vllm27moe_align_block_size_kernelIaEEvPT_PiS3_S3_S3_iim,comdat
.Lfunc_end2:
	.size	_ZN4vllm27moe_align_block_size_kernelIaEEvPT_PiS3_S3_S3_iim, .Lfunc_end2-_ZN4vllm27moe_align_block_size_kernelIaEEvPT_PiS3_S3_S3_iim
                                        ; -- End function
	.section	.AMDGPU.csdata,"",@progbits
; Kernel info:
; codeLenInByte = 3004
; NumSgprs: 33
; NumVgprs: 13
; ScratchSize: 0
; MemoryBound: 0
; FloatMode: 240
; IeeeMode: 1
; LDSByteSize: 0 bytes/workgroup (compile time only)
; SGPRBlocks: 4
; VGPRBlocks: 1
; NumSGPRsForWavesPerEU: 33
; NumVGPRsForWavesPerEU: 13
; Occupancy: 16
; WaveLimiterHint : 0
; COMPUTE_PGM_RSRC2:SCRATCH_EN: 0
; COMPUTE_PGM_RSRC2:USER_SGPR: 15
; COMPUTE_PGM_RSRC2:TRAP_HANDLER: 0
; COMPUTE_PGM_RSRC2:TGID_X_EN: 1
; COMPUTE_PGM_RSRC2:TGID_Y_EN: 0
; COMPUTE_PGM_RSRC2:TGID_Z_EN: 0
; COMPUTE_PGM_RSRC2:TIDIG_COMP_CNT: 0
	.section	.text._ZN4vllm27moe_align_block_size_kernelIsEEvPT_PiS3_S3_S3_iim,"axG",@progbits,_ZN4vllm27moe_align_block_size_kernelIsEEvPT_PiS3_S3_S3_iim,comdat
	.protected	_ZN4vllm27moe_align_block_size_kernelIsEEvPT_PiS3_S3_S3_iim ; -- Begin function _ZN4vllm27moe_align_block_size_kernelIsEEvPT_PiS3_S3_S3_iim
	.globl	_ZN4vllm27moe_align_block_size_kernelIsEEvPT_PiS3_S3_S3_iim
	.p2align	8
	.type	_ZN4vllm27moe_align_block_size_kernelIsEEvPT_PiS3_S3_S3_iim,@function
_ZN4vllm27moe_align_block_size_kernelIsEEvPT_PiS3_S3_S3_iim: ; @_ZN4vllm27moe_align_block_size_kernelIsEEvPT_PiS3_S3_S3_iim
; %bb.0:
	s_clause 0x1
	s_load_b32 s2, s[0:1], 0x44
	s_load_b64 s[4:5], s[0:1], 0x30
	s_mov_b32 s6, 0
	s_waitcnt lgkmcnt(0)
	s_and_b32 s3, s2, 0xffff
	s_delay_alu instid0(SALU_CYCLE_1) | instskip(SKIP_3) | instid1(SALU_CYCLE_1)
	s_add_u32 s2, s4, s3
	s_addc_u32 s7, s5, 0
	s_add_u32 s8, s2, -1
	s_addc_u32 s7, s7, -1
	s_cmp_lg_u64 s[6:7], 0
	s_cbranch_scc0 .LBB3_25
; %bb.1:
	v_cvt_f32_u32_e32 v1, s3
	s_sub_u32 s10, 0, s3
	s_subb_u32 s11, 0, 0
	s_delay_alu instid0(VALU_DEP_1) | instskip(NEXT) | instid1(VALU_DEP_1)
	v_fmamk_f32 v1, 0, 0x4f800000, v1
	v_rcp_f32_e32 v1, v1
	s_waitcnt_depctr 0xfff
	v_mul_f32_e32 v1, 0x5f7ffffc, v1
	s_delay_alu instid0(VALU_DEP_1) | instskip(NEXT) | instid1(VALU_DEP_1)
	v_mul_f32_e32 v2, 0x2f800000, v1
	v_trunc_f32_e32 v2, v2
	s_delay_alu instid0(VALU_DEP_1) | instskip(SKIP_1) | instid1(VALU_DEP_2)
	v_fmamk_f32 v1, v2, 0xcf800000, v1
	v_cvt_u32_f32_e32 v2, v2
	v_cvt_u32_f32_e32 v1, v1
	s_delay_alu instid0(VALU_DEP_2) | instskip(NEXT) | instid1(VALU_DEP_2)
	v_readfirstlane_b32 s2, v2
	v_readfirstlane_b32 s9, v1
	s_delay_alu instid0(VALU_DEP_2) | instskip(NEXT) | instid1(VALU_DEP_1)
	s_mul_i32 s12, s10, s2
	s_mul_hi_u32 s14, s10, s9
	s_mul_i32 s13, s11, s9
	s_add_i32 s12, s14, s12
	s_mul_i32 s15, s10, s9
	s_add_i32 s12, s12, s13
	s_mul_hi_u32 s14, s9, s15
	s_mul_hi_u32 s16, s2, s15
	s_mul_i32 s13, s2, s15
	s_mul_hi_u32 s15, s9, s12
	s_mul_i32 s9, s9, s12
	s_mul_hi_u32 s17, s2, s12
	s_add_u32 s9, s14, s9
	s_addc_u32 s14, 0, s15
	s_add_u32 s9, s9, s13
	s_mul_i32 s12, s2, s12
	s_addc_u32 s9, s14, s16
	s_addc_u32 s13, s17, 0
	s_add_u32 s9, s9, s12
	s_addc_u32 s12, 0, s13
	v_add_co_u32 v1, s9, v1, s9
	s_delay_alu instid0(VALU_DEP_1) | instskip(SKIP_1) | instid1(VALU_DEP_1)
	s_cmp_lg_u32 s9, 0
	s_addc_u32 s2, s2, s12
	v_readfirstlane_b32 s9, v1
	s_mul_i32 s12, s10, s2
	s_delay_alu instid0(VALU_DEP_1)
	s_mul_hi_u32 s13, s10, s9
	s_mul_i32 s11, s11, s9
	s_add_i32 s12, s13, s12
	s_mul_i32 s10, s10, s9
	s_add_i32 s12, s12, s11
	s_mul_hi_u32 s13, s2, s10
	s_mul_i32 s14, s2, s10
	s_mul_hi_u32 s10, s9, s10
	s_mul_hi_u32 s15, s9, s12
	s_mul_i32 s9, s9, s12
	s_mul_hi_u32 s11, s2, s12
	s_add_u32 s9, s10, s9
	s_addc_u32 s10, 0, s15
	s_add_u32 s9, s9, s14
	s_mul_i32 s12, s2, s12
	s_addc_u32 s9, s10, s13
	s_addc_u32 s10, s11, 0
	s_add_u32 s9, s9, s12
	s_addc_u32 s10, 0, s10
	v_add_co_u32 v1, s9, v1, s9
	s_delay_alu instid0(VALU_DEP_1) | instskip(SKIP_1) | instid1(VALU_DEP_1)
	s_cmp_lg_u32 s9, 0
	s_addc_u32 s2, s2, s10
	v_readfirstlane_b32 s9, v1
	s_mul_i32 s11, s8, s2
	s_mul_hi_u32 s10, s8, s2
	s_mul_hi_u32 s12, s7, s2
	s_mul_i32 s2, s7, s2
	s_mul_hi_u32 s13, s8, s9
	s_mul_hi_u32 s14, s7, s9
	s_mul_i32 s9, s7, s9
	s_add_u32 s11, s13, s11
	s_addc_u32 s10, 0, s10
	s_add_u32 s9, s11, s9
	s_addc_u32 s9, s10, s14
	s_addc_u32 s10, s12, 0
	s_add_u32 s9, s9, s2
	s_addc_u32 s10, 0, s10
	s_mul_i32 s12, s3, s9
	s_add_u32 s11, s9, 1
	v_sub_co_u32 v1, s12, s8, s12
	s_mul_hi_u32 s2, s3, s9
	s_addc_u32 s13, s10, 0
	s_mul_i32 s14, s3, s10
	s_add_u32 s15, s9, 2
	s_addc_u32 s16, s10, 0
	v_mov_b32_e32 v3, s15
	s_add_i32 s2, s2, s14
	s_cmp_lg_u32 s12, 0
	v_sub_co_u32 v2, s12, v1, s3
	s_subb_u32 s2, s7, s2
	s_cmp_lg_u32 s12, 0
	v_mov_b32_e32 v4, s16
	s_delay_alu instid0(VALU_DEP_2) | instskip(SKIP_1) | instid1(SALU_CYCLE_1)
	v_cmp_le_u32_e32 vcc_lo, s3, v2
	s_subb_u32 s7, s2, 0
	s_cmp_eq_u32 s7, 0
	v_cndmask_b32_e64 v2, 0, -1, vcc_lo
	s_cselect_b32 vcc_lo, -1, 0
	s_cmp_eq_u32 s2, 0
	s_cselect_b32 s2, -1, 0
	s_delay_alu instid0(VALU_DEP_1) | instskip(SKIP_2) | instid1(VALU_DEP_3)
	v_cndmask_b32_e32 v2, -1, v2, vcc_lo
	v_cmp_le_u32_e32 vcc_lo, s3, v1
	v_cndmask_b32_e64 v1, 0, -1, vcc_lo
	v_cmp_ne_u32_e32 vcc_lo, 0, v2
	s_delay_alu instid0(VALU_DEP_2) | instskip(SKIP_2) | instid1(VALU_DEP_3)
	v_cndmask_b32_e64 v1, -1, v1, s2
	v_cndmask_b32_e32 v2, s11, v3, vcc_lo
	v_cndmask_b32_e32 v3, s13, v4, vcc_lo
	v_cmp_ne_u32_e32 vcc_lo, 0, v1
	s_delay_alu instid0(VALU_DEP_2) | instskip(NEXT) | instid1(VALU_DEP_4)
	v_cndmask_b32_e32 v4, s10, v3, vcc_lo
	v_cndmask_b32_e32 v3, s9, v2, vcc_lo
	s_and_not1_b32 vcc_lo, exec_lo, s6
	s_cbranch_vccnz .LBB3_3
.LBB3_2:
	v_cvt_f32_u32_e32 v1, s3
	s_sub_i32 s6, 0, s3
	s_delay_alu instid0(VALU_DEP_1) | instskip(SKIP_2) | instid1(VALU_DEP_1)
	v_rcp_iflag_f32_e32 v1, v1
	s_waitcnt_depctr 0xfff
	v_mul_f32_e32 v1, 0x4f7ffffe, v1
	v_cvt_u32_f32_e32 v1, v1
	s_delay_alu instid0(VALU_DEP_1) | instskip(NEXT) | instid1(VALU_DEP_1)
	v_readfirstlane_b32 s2, v1
	s_mul_i32 s6, s6, s2
	s_delay_alu instid0(SALU_CYCLE_1) | instskip(NEXT) | instid1(SALU_CYCLE_1)
	s_mul_hi_u32 s6, s2, s6
	s_add_i32 s2, s2, s6
	s_delay_alu instid0(SALU_CYCLE_1) | instskip(NEXT) | instid1(SALU_CYCLE_1)
	s_mul_hi_u32 s2, s8, s2
	s_mul_i32 s6, s2, s3
	s_add_i32 s7, s2, 1
	s_sub_i32 s6, s8, s6
	s_delay_alu instid0(SALU_CYCLE_1)
	s_sub_i32 s8, s6, s3
	s_cmp_ge_u32 s6, s3
	s_cselect_b32 s2, s7, s2
	s_cselect_b32 s6, s8, s6
	s_add_i32 s7, s2, 1
	s_cmp_ge_u32 s6, s3
	s_mov_b32 s3, 0
	s_cselect_b32 s2, s7, s2
	s_delay_alu instid0(SALU_CYCLE_1)
	v_dual_mov_b32 v4, s3 :: v_dual_mov_b32 v3, s2
.LBB3_3:
	s_clause 0x1
	s_load_b64 s[14:15], s[0:1], 0x28
	s_load_b64 s[12:13], s[0:1], 0x0
	s_waitcnt lgkmcnt(0)
	v_cmp_gt_u32_e64 s2, s14, v0
	s_delay_alu instid0(VALU_DEP_1)
	s_and_saveexec_b32 s3, s2
	s_cbranch_execz .LBB3_5
; %bb.4:
	v_lshl_add_u32 v1, v0, 2, 0
	v_mov_b32_e32 v2, 0
	ds_store_b32 v1, v2
.LBB3_5:
	s_or_b32 exec_lo, exec_lo, s3
	v_mad_u64_u32 v[1:2], null, v3, v0, 0
	s_waitcnt lgkmcnt(0)
	s_barrier
	buffer_gl0_inv
	v_mad_u64_u32 v[5:6], null, v4, v0, v[2:3]
	v_add_co_u32 v2, vcc_lo, v1, v3
	s_delay_alu instid0(VALU_DEP_2) | instskip(NEXT) | instid1(VALU_DEP_1)
	v_add_co_ci_u32_e32 v3, vcc_lo, v5, v4, vcc_lo
	v_cmp_lt_u64_e32 vcc_lo, s[4:5], v[2:3]
	v_cndmask_b32_e64 v4, v3, s5, vcc_lo
	v_cndmask_b32_e64 v3, v2, s4, vcc_lo
	v_ashrrev_i32_e32 v2, 31, v1
	s_delay_alu instid0(VALU_DEP_1)
	v_cmp_lt_u64_e32 vcc_lo, v[1:2], v[3:4]
	s_and_saveexec_b32 s4, vcc_lo
	s_cbranch_execz .LBB3_8
; %bb.6:
	v_dual_mov_b32 v7, 1 :: v_dual_mov_b32 v6, v2
	v_mov_b32_e32 v5, v1
	v_mov_b32_e32 v8, v1
	s_mov_b32 s5, 0
	.p2align	6
.LBB3_7:                                ; =>This Inner Loop Header: Depth=1
	s_delay_alu instid0(VALU_DEP_2) | instskip(NEXT) | instid1(VALU_DEP_1)
	v_lshlrev_b64 v[5:6], 1, v[5:6]
	v_add_co_u32 v5, s3, s12, v5
	s_delay_alu instid0(VALU_DEP_1)
	v_add_co_ci_u32_e64 v6, s3, s13, v6, s3
	global_load_i16 v5, v[5:6], off
	s_waitcnt vmcnt(0)
	v_lshl_add_u32 v5, v5, 2, 0
	ds_add_u32 v5, v7
	v_add_nc_u32_e32 v5, 1, v8
	s_delay_alu instid0(VALU_DEP_1) | instskip(SKIP_1) | instid1(VALU_DEP_2)
	v_ashrrev_i32_e32 v6, 31, v5
	v_mov_b32_e32 v8, v5
	v_cmp_le_u64_e64 s3, v[3:4], v[5:6]
	s_delay_alu instid0(VALU_DEP_1) | instskip(NEXT) | instid1(SALU_CYCLE_1)
	s_or_b32 s5, s3, s5
	s_and_not1_b32 exec_lo, exec_lo, s5
	s_cbranch_execnz .LBB3_7
.LBB3_8:
	s_or_b32 exec_lo, exec_lo, s4
	s_load_b256 s[4:11], s[0:1], 0x8
	s_lshl_b32 s17, s14, 2
	s_mov_b32 s16, exec_lo
	s_add_i32 s1, s17, 0
	s_waitcnt lgkmcnt(0)
	s_add_i32 s3, s1, s17
	s_barrier
	buffer_gl0_inv
	v_cmpx_eq_u32_e32 0, v0
	s_cbranch_execz .LBB3_17
; %bb.9:
	v_dual_mov_b32 v5, 0 :: v_dual_mov_b32 v6, s1
	s_cmp_lt_i32 s14, 1
	ds_store_b32 v6, v5
	s_cbranch_scc1 .LBB3_16
; %bb.10:
	s_add_i32 s18, s15, -1
	s_mov_b32 s0, 0
	s_cmp_lt_u32 s14, 8
	s_mov_b32 s25, 0
	s_cbranch_scc1 .LBB3_13
; %bb.11:
	s_abs_i32 s19, s15
	s_and_b32 s0, s14, 0x7ffffff8
	v_cvt_f32_u32_e32 v6, s19
	s_sub_i32 s22, 0, s19
	s_ashr_i32 s20, s15, 31
	s_mov_b32 s21, 0
	s_delay_alu instid0(VALU_DEP_1) | instskip(SKIP_2) | instid1(VALU_DEP_1)
	v_rcp_iflag_f32_e32 v6, v6
	s_waitcnt_depctr 0xfff
	v_mul_f32_e32 v6, 0x4f7ffffe, v6
	v_cvt_u32_f32_e32 v6, v6
	s_delay_alu instid0(VALU_DEP_1) | instskip(NEXT) | instid1(VALU_DEP_1)
	v_readfirstlane_b32 s23, v6
	s_mul_i32 s24, s22, s23
	s_lshl_b32 s22, s14, 3
	s_mul_hi_u32 s24, s23, s24
	s_delay_alu instid0(SALU_CYCLE_1)
	s_add_i32 s23, s23, s24
	s_mov_b32 s24, 0
.LBB3_12:                               ; =>This Inner Loop Header: Depth=1
	v_mov_b32_e32 v6, s21
	s_mul_i32 s26, s25, s15
	s_delay_alu instid0(SALU_CYCLE_1) | instskip(SKIP_3) | instid1(VALU_DEP_1)
	v_mov_b32_e32 v8, s26
	ds_load_b32 v7, v6
	s_waitcnt lgkmcnt(0)
	v_readfirstlane_b32 s26, v7
	s_add_i32 s26, s18, s26
	s_delay_alu instid0(SALU_CYCLE_1)
	s_abs_i32 s27, s26
	s_ashr_i32 s26, s26, 31
	s_mul_hi_u32 s28, s27, s23
	s_xor_b32 s26, s26, s20
	s_mul_i32 s29, s28, s19
	s_add_i32 s30, s28, 1
	s_sub_i32 s27, s27, s29
	s_delay_alu instid0(SALU_CYCLE_1)
	s_sub_i32 s29, s27, s19
	s_cmp_ge_u32 s27, s19
	s_cselect_b32 s28, s30, s28
	s_cselect_b32 s27, s29, s27
	s_add_i32 s29, s28, 1
	s_cmp_ge_u32 s27, s19
	s_cselect_b32 s27, s29, s28
	s_add_i32 s28, s21, s17
	s_xor_b32 s27, s27, s26
	s_add_i32 s29, s21, s22
	s_sub_i32 s26, s27, s26
	v_mov_b32_e32 v9, s29
	s_add_i32 s25, s25, s26
	s_delay_alu instid0(SALU_CYCLE_1)
	v_dual_mov_b32 v7, s28 :: v_dual_mov_b32 v10, s25
	s_mul_i32 s26, s25, s15
	ds_store_b32 v7, v10 offset:4
	ds_store_b32 v9, v8 offset:4
	ds_load_b32 v8, v6 offset:4
	v_mov_b32_e32 v10, s26
	s_waitcnt lgkmcnt(0)
	v_readfirstlane_b32 s26, v8
	s_delay_alu instid0(VALU_DEP_1) | instskip(NEXT) | instid1(SALU_CYCLE_1)
	s_add_i32 s26, s18, s26
	s_abs_i32 s27, s26
	s_ashr_i32 s26, s26, 31
	s_mul_hi_u32 s28, s27, s23
	s_xor_b32 s26, s26, s20
	s_mul_i32 s29, s28, s19
	s_add_i32 s30, s28, 1
	s_sub_i32 s27, s27, s29
	s_delay_alu instid0(SALU_CYCLE_1)
	s_sub_i32 s29, s27, s19
	s_cmp_ge_u32 s27, s19
	s_cselect_b32 s28, s30, s28
	s_cselect_b32 s27, s29, s27
	s_add_i32 s29, s28, 1
	s_cmp_ge_u32 s27, s19
	s_cselect_b32 s27, s29, s28
	s_delay_alu instid0(SALU_CYCLE_1) | instskip(NEXT) | instid1(SALU_CYCLE_1)
	s_xor_b32 s27, s27, s26
	s_sub_i32 s26, s27, s26
	s_delay_alu instid0(SALU_CYCLE_1) | instskip(NEXT) | instid1(SALU_CYCLE_1)
	s_add_i32 s25, s25, s26
	v_mov_b32_e32 v8, s25
	s_mul_i32 s26, s25, s15
	ds_store_b32 v7, v8 offset:8
	ds_store_b32 v9, v10 offset:8
	ds_load_b32 v8, v6 offset:8
	v_mov_b32_e32 v10, s26
	s_waitcnt lgkmcnt(0)
	v_readfirstlane_b32 s26, v8
	s_delay_alu instid0(VALU_DEP_1) | instskip(NEXT) | instid1(SALU_CYCLE_1)
	s_add_i32 s26, s18, s26
	s_abs_i32 s27, s26
	s_ashr_i32 s26, s26, 31
	s_mul_hi_u32 s28, s27, s23
	s_xor_b32 s26, s26, s20
	s_mul_i32 s29, s28, s19
	s_add_i32 s30, s28, 1
	s_sub_i32 s27, s27, s29
	s_delay_alu instid0(SALU_CYCLE_1)
	s_sub_i32 s29, s27, s19
	s_cmp_ge_u32 s27, s19
	s_cselect_b32 s28, s30, s28
	s_cselect_b32 s27, s29, s27
	s_add_i32 s29, s28, 1
	s_cmp_ge_u32 s27, s19
	s_cselect_b32 s27, s29, s28
	s_delay_alu instid0(SALU_CYCLE_1) | instskip(NEXT) | instid1(SALU_CYCLE_1)
	s_xor_b32 s27, s27, s26
	s_sub_i32 s26, s27, s26
	s_delay_alu instid0(SALU_CYCLE_1) | instskip(NEXT) | instid1(SALU_CYCLE_1)
	s_add_i32 s25, s25, s26
	v_mov_b32_e32 v8, s25
	;; [unrolled: 30-line block ×4, first 2 shown]
	s_mul_i32 s26, s25, s15
	ds_store_b32 v7, v8 offset:20
	ds_store_b32 v9, v10 offset:20
	ds_load_b32 v8, v6 offset:20
	s_waitcnt lgkmcnt(0)
	v_readfirstlane_b32 s27, v8
	v_mov_b32_e32 v8, s26
	s_delay_alu instid0(VALU_DEP_2) | instskip(NEXT) | instid1(SALU_CYCLE_1)
	s_add_i32 s26, s18, s27
	s_abs_i32 s27, s26
	s_ashr_i32 s26, s26, 31
	s_mul_hi_u32 s28, s27, s23
	s_xor_b32 s26, s26, s20
	s_mul_i32 s29, s28, s19
	s_add_i32 s30, s28, 1
	s_sub_i32 s27, s27, s29
	s_delay_alu instid0(SALU_CYCLE_1)
	s_sub_i32 s29, s27, s19
	s_cmp_ge_u32 s27, s19
	s_cselect_b32 s28, s30, s28
	s_cselect_b32 s27, s29, s27
	s_add_i32 s29, s28, 1
	s_cmp_ge_u32 s27, s19
	s_cselect_b32 s27, s29, s28
	s_delay_alu instid0(SALU_CYCLE_1) | instskip(NEXT) | instid1(SALU_CYCLE_1)
	s_xor_b32 s27, s27, s26
	s_sub_i32 s26, s27, s26
	s_delay_alu instid0(SALU_CYCLE_1) | instskip(NEXT) | instid1(SALU_CYCLE_1)
	s_add_i32 s25, s25, s26
	v_mov_b32_e32 v10, s25
	s_mul_i32 s27, s25, s15
	ds_store_b32 v7, v10 offset:24
	ds_store_b32 v9, v8 offset:24
	ds_load_b32 v8, v6 offset:24
	s_waitcnt lgkmcnt(0)
	v_readfirstlane_b32 s26, v8
	v_mov_b32_e32 v8, s27
	s_delay_alu instid0(VALU_DEP_2) | instskip(NEXT) | instid1(SALU_CYCLE_1)
	s_add_i32 s26, s18, s26
	s_abs_i32 s27, s26
	s_ashr_i32 s26, s26, 31
	s_mul_hi_u32 s28, s27, s23
	s_xor_b32 s26, s26, s20
	s_mul_i32 s29, s28, s19
	s_add_i32 s30, s28, 1
	s_sub_i32 s27, s27, s29
	s_delay_alu instid0(SALU_CYCLE_1)
	s_sub_i32 s29, s27, s19
	s_cmp_ge_u32 s27, s19
	s_cselect_b32 s28, s30, s28
	s_cselect_b32 s27, s29, s27
	s_add_i32 s29, s28, 1
	s_cmp_ge_u32 s27, s19
	s_cselect_b32 s27, s29, s28
	s_delay_alu instid0(SALU_CYCLE_1) | instskip(NEXT) | instid1(SALU_CYCLE_1)
	s_xor_b32 s27, s27, s26
	s_sub_i32 s26, s27, s26
	s_delay_alu instid0(SALU_CYCLE_1) | instskip(NEXT) | instid1(SALU_CYCLE_1)
	s_add_i32 s25, s25, s26
	v_mov_b32_e32 v10, s25
	s_mul_i32 s27, s25, s15
	ds_store_b32 v7, v10 offset:28
	ds_store_b32 v9, v8 offset:28
	ds_load_b32 v6, v6 offset:28
	s_waitcnt lgkmcnt(0)
	v_readfirstlane_b32 s26, v6
	v_mov_b32_e32 v6, s27
	s_delay_alu instid0(VALU_DEP_2) | instskip(NEXT) | instid1(SALU_CYCLE_1)
	s_add_i32 s26, s18, s26
	s_abs_i32 s27, s26
	s_ashr_i32 s26, s26, 31
	s_mul_hi_u32 s28, s27, s23
	s_xor_b32 s26, s26, s20
	s_mul_i32 s29, s28, s19
	s_add_i32 s30, s28, 1
	s_sub_i32 s27, s27, s29
	s_delay_alu instid0(SALU_CYCLE_1)
	s_sub_i32 s29, s27, s19
	s_cmp_ge_u32 s27, s19
	s_cselect_b32 s28, s30, s28
	s_cselect_b32 s27, s29, s27
	s_add_i32 s29, s28, 1
	s_cmp_ge_u32 s27, s19
	s_cselect_b32 s27, s29, s28
	s_add_i32 s24, s24, 8
	s_xor_b32 s27, s27, s26
	s_add_i32 s21, s21, 32
	s_sub_i32 s26, s27, s26
	s_delay_alu instid0(SALU_CYCLE_1)
	s_add_i32 s25, s25, s26
	s_cmp_eq_u32 s0, s24
	v_mov_b32_e32 v8, s25
	ds_store_b32 v7, v8 offset:32
	ds_store_b32 v9, v6 offset:32
	s_cbranch_scc0 .LBB3_12
.LBB3_13:
	s_and_b32 s19, s14, 7
	s_delay_alu instid0(SALU_CYCLE_1)
	s_cmp_eq_u32 s19, 0
	s_cbranch_scc1 .LBB3_16
; %bb.14:
	s_abs_i32 s20, s15
	s_lshl_b32 s0, s0, 2
	v_cvt_f32_u32_e32 v6, s20
	s_sub_i32 s21, 0, s20
	s_lshl_b32 s14, s14, 3
	s_add_i32 s22, s0, 0
	s_delay_alu instid0(VALU_DEP_1) | instskip(SKIP_2) | instid1(VALU_DEP_1)
	v_rcp_iflag_f32_e32 v6, v6
	s_waitcnt_depctr 0xfff
	v_mul_f32_e32 v6, 0x4f7ffffe, v6
	v_cvt_u32_f32_e32 v6, v6
	s_delay_alu instid0(VALU_DEP_1) | instskip(SKIP_1) | instid1(VALU_DEP_1)
	v_mul_lo_u32 v7, s21, v6
	s_ashr_i32 s21, s15, 31
	v_mul_hi_u32 v7, v6, v7
	s_delay_alu instid0(VALU_DEP_1)
	v_dual_mov_b32 v7, s25 :: v_dual_add_nc_u32 v6, v6, v7
	s_set_inst_prefetch_distance 0x1
	.p2align	6
.LBB3_15:                               ; =>This Inner Loop Header: Depth=1
	v_mov_b32_e32 v8, s22
	s_add_i32 s23, s22, s14
	s_add_i32 s19, s19, -1
	ds_load_b32 v8, v8
	s_waitcnt lgkmcnt(0)
	v_add_nc_u32_e32 v8, s18, v8
	s_delay_alu instid0(VALU_DEP_1) | instskip(NEXT) | instid1(VALU_DEP_1)
	v_sub_nc_u32_e32 v9, 0, v8
	v_max_i32_e32 v9, v8, v9
	s_delay_alu instid0(VALU_DEP_1) | instskip(NEXT) | instid1(VALU_DEP_1)
	v_mul_hi_u32 v10, v9, v6
	v_mul_lo_u32 v11, v10, s20
	v_add_nc_u32_e32 v12, 1, v10
	s_delay_alu instid0(VALU_DEP_2) | instskip(NEXT) | instid1(VALU_DEP_1)
	v_sub_nc_u32_e32 v9, v9, v11
	v_subrev_nc_u32_e32 v11, s20, v9
	v_cmp_le_u32_e64 s0, s20, v9
	s_delay_alu instid0(VALU_DEP_1) | instskip(NEXT) | instid1(VALU_DEP_3)
	v_cndmask_b32_e64 v10, v10, v12, s0
	v_cndmask_b32_e64 v9, v9, v11, s0
	s_delay_alu instid0(VALU_DEP_2) | instskip(NEXT) | instid1(VALU_DEP_2)
	v_add_nc_u32_e32 v11, 1, v10
	v_cmp_le_u32_e64 s0, s20, v9
	s_delay_alu instid0(VALU_DEP_1)
	v_cndmask_b32_e64 v9, v10, v11, s0
	v_mov_b32_e32 v11, s23
	v_ashrrev_i32_e32 v8, 31, v8
	s_add_i32 s0, s22, s17
	s_add_i32 s22, s22, 4
	v_mov_b32_e32 v10, s0
	s_cmp_lg_u32 s19, 0
	v_xor_b32_e32 v8, s21, v8
	s_delay_alu instid0(VALU_DEP_1) | instskip(NEXT) | instid1(VALU_DEP_1)
	v_xor_b32_e32 v9, v9, v8
	v_sub_nc_u32_e32 v8, v9, v8
	v_mul_lo_u32 v9, v7, s15
	s_delay_alu instid0(VALU_DEP_2)
	v_add_nc_u32_e32 v8, v7, v8
	ds_store_b32 v10, v8 offset:4
	ds_store_b32 v11, v9 offset:4
	v_mov_b32_e32 v7, v8
	s_cbranch_scc1 .LBB3_15
.LBB3_16:
	s_set_inst_prefetch_distance 0x2
	v_mov_b32_e32 v6, s3
	ds_load_b32 v6, v6
	s_waitcnt lgkmcnt(0)
	v_mul_lo_u32 v6, v6, s15
	global_store_b32 v5, v6, s[10:11]
.LBB3_17:
	s_or_b32 exec_lo, exec_lo, s16
	s_waitcnt_vscnt null, 0x0
	s_barrier
	buffer_gl0_inv
	s_and_saveexec_b32 s10, s2
	s_cbranch_execz .LBB3_21
; %bb.18:
	v_lshl_add_u32 v5, v0, 2, s1
	ds_load_2addr_b32 v[5:6], v5 offset1:1
	s_waitcnt lgkmcnt(0)
	v_cmp_lt_i32_e64 s0, v5, v6
	s_delay_alu instid0(VALU_DEP_1)
	s_and_b32 exec_lo, exec_lo, s0
	s_cbranch_execz .LBB3_21
; %bb.19:
	v_lshl_add_u32 v9, v0, 2, 0
	v_ashrrev_i32_e32 v8, 31, v5
	v_mov_b32_e32 v7, v5
	s_mov_b32 s2, 0
	ds_load_b32 v11, v9
	v_lshlrev_b64 v[9:10], 2, v[7:8]
	s_delay_alu instid0(VALU_DEP_1) | instskip(NEXT) | instid1(VALU_DEP_1)
	v_add_co_u32 v7, s0, s6, v9
	v_add_co_ci_u32_e64 v8, s0, s7, v10, s0
	v_add_co_u32 v9, s0, s8, v9
	s_delay_alu instid0(VALU_DEP_1)
	v_add_co_ci_u32_e64 v10, s0, s9, v10, s0
	.p2align	6
.LBB3_20:                               ; =>This Inner Loop Header: Depth=1
	v_add_nc_u32_e32 v5, 1, v5
	global_store_b32 v[7:8], v0, off
	s_waitcnt lgkmcnt(0)
	global_store_b32 v[9:10], v11, off
	v_add_co_u32 v7, s0, v7, 4
	s_delay_alu instid0(VALU_DEP_1) | instskip(SKIP_4) | instid1(VALU_DEP_4)
	v_add_co_ci_u32_e64 v8, s0, 0, v8, s0
	v_cmp_ge_i32_e64 s0, v5, v6
	v_add_co_u32 v9, s1, v9, 4
	v_subrev_nc_u32_e32 v11, s15, v11
	v_add_co_ci_u32_e64 v10, s1, 0, v10, s1
	s_or_b32 s2, s0, s2
	s_delay_alu instid0(SALU_CYCLE_1)
	s_and_not1_b32 exec_lo, exec_lo, s2
	s_cbranch_execnz .LBB3_20
.LBB3_21:
	s_or_b32 exec_lo, exec_lo, s10
	s_waitcnt_vscnt null, 0x0
	s_barrier
	buffer_gl0_inv
	s_and_saveexec_b32 s0, vcc_lo
	s_cbranch_execz .LBB3_24
; %bb.22:
	v_mov_b32_e32 v0, 1
	s_add_i32 s3, s3, 4
	s_mov_b32 s0, 0
	.p2align	6
.LBB3_23:                               ; =>This Inner Loop Header: Depth=1
	v_lshlrev_b64 v[5:6], 1, v[1:2]
	s_delay_alu instid0(VALU_DEP_1) | instskip(NEXT) | instid1(VALU_DEP_2)
	v_add_co_u32 v5, vcc_lo, s12, v5
	v_add_co_ci_u32_e32 v6, vcc_lo, s13, v6, vcc_lo
	global_load_i16 v2, v[5:6], off
	s_waitcnt vmcnt(0)
	v_lshl_add_u32 v2, v2, 2, s3
	ds_add_rtn_u32 v5, v2, v0
	s_waitcnt lgkmcnt(0)
	v_ashrrev_i32_e32 v6, 31, v5
	s_delay_alu instid0(VALU_DEP_1) | instskip(NEXT) | instid1(VALU_DEP_1)
	v_lshlrev_b64 v[5:6], 2, v[5:6]
	v_add_co_u32 v5, vcc_lo, s4, v5
	s_delay_alu instid0(VALU_DEP_2) | instskip(SKIP_2) | instid1(VALU_DEP_1)
	v_add_co_ci_u32_e32 v6, vcc_lo, s5, v6, vcc_lo
	global_store_b32 v[5:6], v1, off
	v_add_nc_u32_e32 v1, 1, v1
	v_ashrrev_i32_e32 v2, 31, v1
	s_delay_alu instid0(VALU_DEP_1) | instskip(SKIP_1) | instid1(SALU_CYCLE_1)
	v_cmp_le_u64_e32 vcc_lo, v[3:4], v[1:2]
	s_or_b32 s0, vcc_lo, s0
	s_and_not1_b32 exec_lo, exec_lo, s0
	s_cbranch_execnz .LBB3_23
.LBB3_24:
	s_nop 0
	s_sendmsg sendmsg(MSG_DEALLOC_VGPRS)
	s_endpgm
.LBB3_25:
                                        ; implicit-def: $vgpr3_vgpr4
	s_branch .LBB3_2
	.section	.rodata,"a",@progbits
	.p2align	6, 0x0
	.amdhsa_kernel _ZN4vllm27moe_align_block_size_kernelIsEEvPT_PiS3_S3_S3_iim
		.amdhsa_group_segment_fixed_size 0
		.amdhsa_private_segment_fixed_size 0
		.amdhsa_kernarg_size 312
		.amdhsa_user_sgpr_count 15
		.amdhsa_user_sgpr_dispatch_ptr 0
		.amdhsa_user_sgpr_queue_ptr 0
		.amdhsa_user_sgpr_kernarg_segment_ptr 1
		.amdhsa_user_sgpr_dispatch_id 0
		.amdhsa_user_sgpr_private_segment_size 0
		.amdhsa_wavefront_size32 1
		.amdhsa_uses_dynamic_stack 0
		.amdhsa_enable_private_segment 0
		.amdhsa_system_sgpr_workgroup_id_x 1
		.amdhsa_system_sgpr_workgroup_id_y 0
		.amdhsa_system_sgpr_workgroup_id_z 0
		.amdhsa_system_sgpr_workgroup_info 0
		.amdhsa_system_vgpr_workitem_id 0
		.amdhsa_next_free_vgpr 13
		.amdhsa_next_free_sgpr 31
		.amdhsa_reserve_vcc 1
		.amdhsa_float_round_mode_32 0
		.amdhsa_float_round_mode_16_64 0
		.amdhsa_float_denorm_mode_32 3
		.amdhsa_float_denorm_mode_16_64 3
		.amdhsa_dx10_clamp 1
		.amdhsa_ieee_mode 1
		.amdhsa_fp16_overflow 0
		.amdhsa_workgroup_processor_mode 1
		.amdhsa_memory_ordered 1
		.amdhsa_forward_progress 0
		.amdhsa_shared_vgpr_count 0
		.amdhsa_exception_fp_ieee_invalid_op 0
		.amdhsa_exception_fp_denorm_src 0
		.amdhsa_exception_fp_ieee_div_zero 0
		.amdhsa_exception_fp_ieee_overflow 0
		.amdhsa_exception_fp_ieee_underflow 0
		.amdhsa_exception_fp_ieee_inexact 0
		.amdhsa_exception_int_div_zero 0
	.end_amdhsa_kernel
	.section	.text._ZN4vllm27moe_align_block_size_kernelIsEEvPT_PiS3_S3_S3_iim,"axG",@progbits,_ZN4vllm27moe_align_block_size_kernelIsEEvPT_PiS3_S3_S3_iim,comdat
.Lfunc_end3:
	.size	_ZN4vllm27moe_align_block_size_kernelIsEEvPT_PiS3_S3_S3_iim, .Lfunc_end3-_ZN4vllm27moe_align_block_size_kernelIsEEvPT_PiS3_S3_S3_iim
                                        ; -- End function
	.section	.AMDGPU.csdata,"",@progbits
; Kernel info:
; codeLenInByte = 3028
; NumSgprs: 33
; NumVgprs: 13
; ScratchSize: 0
; MemoryBound: 0
; FloatMode: 240
; IeeeMode: 1
; LDSByteSize: 0 bytes/workgroup (compile time only)
; SGPRBlocks: 4
; VGPRBlocks: 1
; NumSGPRsForWavesPerEU: 33
; NumVGPRsForWavesPerEU: 13
; Occupancy: 16
; WaveLimiterHint : 0
; COMPUTE_PGM_RSRC2:SCRATCH_EN: 0
; COMPUTE_PGM_RSRC2:USER_SGPR: 15
; COMPUTE_PGM_RSRC2:TRAP_HANDLER: 0
; COMPUTE_PGM_RSRC2:TGID_X_EN: 1
; COMPUTE_PGM_RSRC2:TGID_Y_EN: 0
; COMPUTE_PGM_RSRC2:TGID_Z_EN: 0
; COMPUTE_PGM_RSRC2:TIDIG_COMP_CNT: 0
	.section	.text._ZN4vllm27moe_align_block_size_kernelIiEEvPT_PiS3_S3_S3_iim,"axG",@progbits,_ZN4vllm27moe_align_block_size_kernelIiEEvPT_PiS3_S3_S3_iim,comdat
	.protected	_ZN4vllm27moe_align_block_size_kernelIiEEvPT_PiS3_S3_S3_iim ; -- Begin function _ZN4vllm27moe_align_block_size_kernelIiEEvPT_PiS3_S3_S3_iim
	.globl	_ZN4vllm27moe_align_block_size_kernelIiEEvPT_PiS3_S3_S3_iim
	.p2align	8
	.type	_ZN4vllm27moe_align_block_size_kernelIiEEvPT_PiS3_S3_S3_iim,@function
_ZN4vllm27moe_align_block_size_kernelIiEEvPT_PiS3_S3_S3_iim: ; @_ZN4vllm27moe_align_block_size_kernelIiEEvPT_PiS3_S3_S3_iim
; %bb.0:
	s_clause 0x1
	s_load_b32 s2, s[0:1], 0x44
	s_load_b64 s[4:5], s[0:1], 0x30
	s_mov_b32 s6, 0
	s_waitcnt lgkmcnt(0)
	s_and_b32 s3, s2, 0xffff
	s_delay_alu instid0(SALU_CYCLE_1) | instskip(SKIP_3) | instid1(SALU_CYCLE_1)
	s_add_u32 s2, s4, s3
	s_addc_u32 s7, s5, 0
	s_add_u32 s8, s2, -1
	s_addc_u32 s7, s7, -1
	s_cmp_lg_u64 s[6:7], 0
	s_cbranch_scc0 .LBB4_25
; %bb.1:
	v_cvt_f32_u32_e32 v1, s3
	s_sub_u32 s10, 0, s3
	s_subb_u32 s11, 0, 0
	s_delay_alu instid0(VALU_DEP_1) | instskip(NEXT) | instid1(VALU_DEP_1)
	v_fmamk_f32 v1, 0, 0x4f800000, v1
	v_rcp_f32_e32 v1, v1
	s_waitcnt_depctr 0xfff
	v_mul_f32_e32 v1, 0x5f7ffffc, v1
	s_delay_alu instid0(VALU_DEP_1) | instskip(NEXT) | instid1(VALU_DEP_1)
	v_mul_f32_e32 v2, 0x2f800000, v1
	v_trunc_f32_e32 v2, v2
	s_delay_alu instid0(VALU_DEP_1) | instskip(SKIP_1) | instid1(VALU_DEP_2)
	v_fmamk_f32 v1, v2, 0xcf800000, v1
	v_cvt_u32_f32_e32 v2, v2
	v_cvt_u32_f32_e32 v1, v1
	s_delay_alu instid0(VALU_DEP_2) | instskip(NEXT) | instid1(VALU_DEP_2)
	v_readfirstlane_b32 s2, v2
	v_readfirstlane_b32 s9, v1
	s_delay_alu instid0(VALU_DEP_2) | instskip(NEXT) | instid1(VALU_DEP_1)
	s_mul_i32 s12, s10, s2
	s_mul_hi_u32 s14, s10, s9
	s_mul_i32 s13, s11, s9
	s_add_i32 s12, s14, s12
	s_mul_i32 s15, s10, s9
	s_add_i32 s12, s12, s13
	s_mul_hi_u32 s14, s9, s15
	s_mul_hi_u32 s16, s2, s15
	s_mul_i32 s13, s2, s15
	s_mul_hi_u32 s15, s9, s12
	s_mul_i32 s9, s9, s12
	s_mul_hi_u32 s17, s2, s12
	s_add_u32 s9, s14, s9
	s_addc_u32 s14, 0, s15
	s_add_u32 s9, s9, s13
	s_mul_i32 s12, s2, s12
	s_addc_u32 s9, s14, s16
	s_addc_u32 s13, s17, 0
	s_add_u32 s9, s9, s12
	s_addc_u32 s12, 0, s13
	v_add_co_u32 v1, s9, v1, s9
	s_delay_alu instid0(VALU_DEP_1) | instskip(SKIP_1) | instid1(VALU_DEP_1)
	s_cmp_lg_u32 s9, 0
	s_addc_u32 s2, s2, s12
	v_readfirstlane_b32 s9, v1
	s_mul_i32 s12, s10, s2
	s_delay_alu instid0(VALU_DEP_1)
	s_mul_hi_u32 s13, s10, s9
	s_mul_i32 s11, s11, s9
	s_add_i32 s12, s13, s12
	s_mul_i32 s10, s10, s9
	s_add_i32 s12, s12, s11
	s_mul_hi_u32 s13, s2, s10
	s_mul_i32 s14, s2, s10
	s_mul_hi_u32 s10, s9, s10
	s_mul_hi_u32 s15, s9, s12
	s_mul_i32 s9, s9, s12
	s_mul_hi_u32 s11, s2, s12
	s_add_u32 s9, s10, s9
	s_addc_u32 s10, 0, s15
	s_add_u32 s9, s9, s14
	s_mul_i32 s12, s2, s12
	s_addc_u32 s9, s10, s13
	s_addc_u32 s10, s11, 0
	s_add_u32 s9, s9, s12
	s_addc_u32 s10, 0, s10
	v_add_co_u32 v1, s9, v1, s9
	s_delay_alu instid0(VALU_DEP_1) | instskip(SKIP_1) | instid1(VALU_DEP_1)
	s_cmp_lg_u32 s9, 0
	s_addc_u32 s2, s2, s10
	v_readfirstlane_b32 s9, v1
	s_mul_i32 s11, s8, s2
	s_mul_hi_u32 s10, s8, s2
	s_mul_hi_u32 s12, s7, s2
	s_mul_i32 s2, s7, s2
	s_mul_hi_u32 s13, s8, s9
	s_mul_hi_u32 s14, s7, s9
	s_mul_i32 s9, s7, s9
	s_add_u32 s11, s13, s11
	s_addc_u32 s10, 0, s10
	s_add_u32 s9, s11, s9
	s_addc_u32 s9, s10, s14
	s_addc_u32 s10, s12, 0
	s_add_u32 s9, s9, s2
	s_addc_u32 s10, 0, s10
	s_mul_i32 s12, s3, s9
	s_add_u32 s11, s9, 1
	v_sub_co_u32 v1, s12, s8, s12
	s_mul_hi_u32 s2, s3, s9
	s_addc_u32 s13, s10, 0
	s_mul_i32 s14, s3, s10
	s_add_u32 s15, s9, 2
	s_addc_u32 s16, s10, 0
	v_mov_b32_e32 v3, s15
	s_add_i32 s2, s2, s14
	s_cmp_lg_u32 s12, 0
	v_sub_co_u32 v2, s12, v1, s3
	s_subb_u32 s2, s7, s2
	s_cmp_lg_u32 s12, 0
	v_mov_b32_e32 v4, s16
	s_delay_alu instid0(VALU_DEP_2) | instskip(SKIP_1) | instid1(SALU_CYCLE_1)
	v_cmp_le_u32_e32 vcc_lo, s3, v2
	s_subb_u32 s7, s2, 0
	s_cmp_eq_u32 s7, 0
	v_cndmask_b32_e64 v2, 0, -1, vcc_lo
	s_cselect_b32 vcc_lo, -1, 0
	s_cmp_eq_u32 s2, 0
	s_cselect_b32 s2, -1, 0
	s_delay_alu instid0(VALU_DEP_1) | instskip(SKIP_2) | instid1(VALU_DEP_3)
	v_cndmask_b32_e32 v2, -1, v2, vcc_lo
	v_cmp_le_u32_e32 vcc_lo, s3, v1
	v_cndmask_b32_e64 v1, 0, -1, vcc_lo
	v_cmp_ne_u32_e32 vcc_lo, 0, v2
	s_delay_alu instid0(VALU_DEP_2) | instskip(SKIP_2) | instid1(VALU_DEP_3)
	v_cndmask_b32_e64 v1, -1, v1, s2
	v_cndmask_b32_e32 v2, s11, v3, vcc_lo
	v_cndmask_b32_e32 v3, s13, v4, vcc_lo
	v_cmp_ne_u32_e32 vcc_lo, 0, v1
	s_delay_alu instid0(VALU_DEP_2) | instskip(NEXT) | instid1(VALU_DEP_4)
	v_cndmask_b32_e32 v4, s10, v3, vcc_lo
	v_cndmask_b32_e32 v3, s9, v2, vcc_lo
	s_and_not1_b32 vcc_lo, exec_lo, s6
	s_cbranch_vccnz .LBB4_3
.LBB4_2:
	v_cvt_f32_u32_e32 v1, s3
	s_sub_i32 s6, 0, s3
	s_delay_alu instid0(VALU_DEP_1) | instskip(SKIP_2) | instid1(VALU_DEP_1)
	v_rcp_iflag_f32_e32 v1, v1
	s_waitcnt_depctr 0xfff
	v_mul_f32_e32 v1, 0x4f7ffffe, v1
	v_cvt_u32_f32_e32 v1, v1
	s_delay_alu instid0(VALU_DEP_1) | instskip(NEXT) | instid1(VALU_DEP_1)
	v_readfirstlane_b32 s2, v1
	s_mul_i32 s6, s6, s2
	s_delay_alu instid0(SALU_CYCLE_1) | instskip(NEXT) | instid1(SALU_CYCLE_1)
	s_mul_hi_u32 s6, s2, s6
	s_add_i32 s2, s2, s6
	s_delay_alu instid0(SALU_CYCLE_1) | instskip(NEXT) | instid1(SALU_CYCLE_1)
	s_mul_hi_u32 s2, s8, s2
	s_mul_i32 s6, s2, s3
	s_add_i32 s7, s2, 1
	s_sub_i32 s6, s8, s6
	s_delay_alu instid0(SALU_CYCLE_1)
	s_sub_i32 s8, s6, s3
	s_cmp_ge_u32 s6, s3
	s_cselect_b32 s2, s7, s2
	s_cselect_b32 s6, s8, s6
	s_add_i32 s7, s2, 1
	s_cmp_ge_u32 s6, s3
	s_mov_b32 s3, 0
	s_cselect_b32 s2, s7, s2
	s_delay_alu instid0(SALU_CYCLE_1)
	v_dual_mov_b32 v4, s3 :: v_dual_mov_b32 v3, s2
.LBB4_3:
	s_clause 0x1
	s_load_b64 s[14:15], s[0:1], 0x28
	s_load_b64 s[12:13], s[0:1], 0x0
	s_waitcnt lgkmcnt(0)
	v_cmp_gt_u32_e64 s2, s14, v0
	s_delay_alu instid0(VALU_DEP_1)
	s_and_saveexec_b32 s3, s2
	s_cbranch_execz .LBB4_5
; %bb.4:
	v_lshl_add_u32 v1, v0, 2, 0
	v_mov_b32_e32 v2, 0
	ds_store_b32 v1, v2
.LBB4_5:
	s_or_b32 exec_lo, exec_lo, s3
	v_mad_u64_u32 v[1:2], null, v3, v0, 0
	s_waitcnt lgkmcnt(0)
	s_barrier
	buffer_gl0_inv
	v_mad_u64_u32 v[5:6], null, v4, v0, v[2:3]
	v_add_co_u32 v2, vcc_lo, v1, v3
	s_delay_alu instid0(VALU_DEP_2) | instskip(NEXT) | instid1(VALU_DEP_1)
	v_add_co_ci_u32_e32 v3, vcc_lo, v5, v4, vcc_lo
	v_cmp_lt_u64_e32 vcc_lo, s[4:5], v[2:3]
	v_cndmask_b32_e64 v4, v3, s5, vcc_lo
	v_cndmask_b32_e64 v3, v2, s4, vcc_lo
	v_ashrrev_i32_e32 v2, 31, v1
	s_delay_alu instid0(VALU_DEP_1)
	v_cmp_lt_u64_e32 vcc_lo, v[1:2], v[3:4]
	s_and_saveexec_b32 s4, vcc_lo
	s_cbranch_execz .LBB4_8
; %bb.6:
	v_dual_mov_b32 v7, 1 :: v_dual_mov_b32 v6, v2
	v_mov_b32_e32 v5, v1
	v_mov_b32_e32 v8, v1
	s_mov_b32 s5, 0
	.p2align	6
.LBB4_7:                                ; =>This Inner Loop Header: Depth=1
	s_delay_alu instid0(VALU_DEP_2) | instskip(NEXT) | instid1(VALU_DEP_1)
	v_lshlrev_b64 v[5:6], 2, v[5:6]
	v_add_co_u32 v5, s3, s12, v5
	s_delay_alu instid0(VALU_DEP_1)
	v_add_co_ci_u32_e64 v6, s3, s13, v6, s3
	global_load_b32 v5, v[5:6], off
	s_waitcnt vmcnt(0)
	v_lshl_add_u32 v5, v5, 2, 0
	ds_add_u32 v5, v7
	v_add_nc_u32_e32 v5, 1, v8
	s_delay_alu instid0(VALU_DEP_1) | instskip(SKIP_1) | instid1(VALU_DEP_2)
	v_ashrrev_i32_e32 v6, 31, v5
	v_mov_b32_e32 v8, v5
	v_cmp_le_u64_e64 s3, v[3:4], v[5:6]
	s_delay_alu instid0(VALU_DEP_1) | instskip(NEXT) | instid1(SALU_CYCLE_1)
	s_or_b32 s5, s3, s5
	s_and_not1_b32 exec_lo, exec_lo, s5
	s_cbranch_execnz .LBB4_7
.LBB4_8:
	s_or_b32 exec_lo, exec_lo, s4
	s_load_b256 s[4:11], s[0:1], 0x8
	s_lshl_b32 s17, s14, 2
	s_mov_b32 s16, exec_lo
	s_add_i32 s1, s17, 0
	s_waitcnt lgkmcnt(0)
	s_add_i32 s3, s1, s17
	s_barrier
	buffer_gl0_inv
	v_cmpx_eq_u32_e32 0, v0
	s_cbranch_execz .LBB4_17
; %bb.9:
	v_dual_mov_b32 v5, 0 :: v_dual_mov_b32 v6, s1
	s_cmp_lt_i32 s14, 1
	ds_store_b32 v6, v5
	s_cbranch_scc1 .LBB4_16
; %bb.10:
	s_add_i32 s18, s15, -1
	s_mov_b32 s0, 0
	s_cmp_lt_u32 s14, 8
	s_mov_b32 s25, 0
	s_cbranch_scc1 .LBB4_13
; %bb.11:
	s_abs_i32 s19, s15
	s_and_b32 s0, s14, 0x7ffffff8
	v_cvt_f32_u32_e32 v6, s19
	s_sub_i32 s22, 0, s19
	s_ashr_i32 s20, s15, 31
	s_mov_b32 s21, 0
	s_delay_alu instid0(VALU_DEP_1) | instskip(SKIP_2) | instid1(VALU_DEP_1)
	v_rcp_iflag_f32_e32 v6, v6
	s_waitcnt_depctr 0xfff
	v_mul_f32_e32 v6, 0x4f7ffffe, v6
	v_cvt_u32_f32_e32 v6, v6
	s_delay_alu instid0(VALU_DEP_1) | instskip(NEXT) | instid1(VALU_DEP_1)
	v_readfirstlane_b32 s23, v6
	s_mul_i32 s24, s22, s23
	s_lshl_b32 s22, s14, 3
	s_mul_hi_u32 s24, s23, s24
	s_delay_alu instid0(SALU_CYCLE_1)
	s_add_i32 s23, s23, s24
	s_mov_b32 s24, 0
.LBB4_12:                               ; =>This Inner Loop Header: Depth=1
	v_mov_b32_e32 v6, s21
	s_mul_i32 s26, s25, s15
	s_delay_alu instid0(SALU_CYCLE_1) | instskip(SKIP_3) | instid1(VALU_DEP_1)
	v_mov_b32_e32 v8, s26
	ds_load_b32 v7, v6
	s_waitcnt lgkmcnt(0)
	v_readfirstlane_b32 s26, v7
	s_add_i32 s26, s18, s26
	s_delay_alu instid0(SALU_CYCLE_1)
	s_abs_i32 s27, s26
	s_ashr_i32 s26, s26, 31
	s_mul_hi_u32 s28, s27, s23
	s_xor_b32 s26, s26, s20
	s_mul_i32 s29, s28, s19
	s_add_i32 s30, s28, 1
	s_sub_i32 s27, s27, s29
	s_delay_alu instid0(SALU_CYCLE_1)
	s_sub_i32 s29, s27, s19
	s_cmp_ge_u32 s27, s19
	s_cselect_b32 s28, s30, s28
	s_cselect_b32 s27, s29, s27
	s_add_i32 s29, s28, 1
	s_cmp_ge_u32 s27, s19
	s_cselect_b32 s27, s29, s28
	s_add_i32 s28, s21, s17
	s_xor_b32 s27, s27, s26
	s_add_i32 s29, s21, s22
	s_sub_i32 s26, s27, s26
	v_mov_b32_e32 v9, s29
	s_add_i32 s25, s25, s26
	s_delay_alu instid0(SALU_CYCLE_1)
	v_dual_mov_b32 v7, s28 :: v_dual_mov_b32 v10, s25
	s_mul_i32 s26, s25, s15
	ds_store_b32 v7, v10 offset:4
	ds_store_b32 v9, v8 offset:4
	ds_load_b32 v8, v6 offset:4
	v_mov_b32_e32 v10, s26
	s_waitcnt lgkmcnt(0)
	v_readfirstlane_b32 s26, v8
	s_delay_alu instid0(VALU_DEP_1) | instskip(NEXT) | instid1(SALU_CYCLE_1)
	s_add_i32 s26, s18, s26
	s_abs_i32 s27, s26
	s_ashr_i32 s26, s26, 31
	s_mul_hi_u32 s28, s27, s23
	s_xor_b32 s26, s26, s20
	s_mul_i32 s29, s28, s19
	s_add_i32 s30, s28, 1
	s_sub_i32 s27, s27, s29
	s_delay_alu instid0(SALU_CYCLE_1)
	s_sub_i32 s29, s27, s19
	s_cmp_ge_u32 s27, s19
	s_cselect_b32 s28, s30, s28
	s_cselect_b32 s27, s29, s27
	s_add_i32 s29, s28, 1
	s_cmp_ge_u32 s27, s19
	s_cselect_b32 s27, s29, s28
	s_delay_alu instid0(SALU_CYCLE_1) | instskip(NEXT) | instid1(SALU_CYCLE_1)
	s_xor_b32 s27, s27, s26
	s_sub_i32 s26, s27, s26
	s_delay_alu instid0(SALU_CYCLE_1) | instskip(NEXT) | instid1(SALU_CYCLE_1)
	s_add_i32 s25, s25, s26
	v_mov_b32_e32 v8, s25
	s_mul_i32 s26, s25, s15
	ds_store_b32 v7, v8 offset:8
	ds_store_b32 v9, v10 offset:8
	ds_load_b32 v8, v6 offset:8
	v_mov_b32_e32 v10, s26
	s_waitcnt lgkmcnt(0)
	v_readfirstlane_b32 s26, v8
	s_delay_alu instid0(VALU_DEP_1) | instskip(NEXT) | instid1(SALU_CYCLE_1)
	s_add_i32 s26, s18, s26
	s_abs_i32 s27, s26
	s_ashr_i32 s26, s26, 31
	s_mul_hi_u32 s28, s27, s23
	s_xor_b32 s26, s26, s20
	s_mul_i32 s29, s28, s19
	s_add_i32 s30, s28, 1
	s_sub_i32 s27, s27, s29
	s_delay_alu instid0(SALU_CYCLE_1)
	s_sub_i32 s29, s27, s19
	s_cmp_ge_u32 s27, s19
	s_cselect_b32 s28, s30, s28
	s_cselect_b32 s27, s29, s27
	s_add_i32 s29, s28, 1
	s_cmp_ge_u32 s27, s19
	s_cselect_b32 s27, s29, s28
	s_delay_alu instid0(SALU_CYCLE_1) | instskip(NEXT) | instid1(SALU_CYCLE_1)
	s_xor_b32 s27, s27, s26
	s_sub_i32 s26, s27, s26
	s_delay_alu instid0(SALU_CYCLE_1) | instskip(NEXT) | instid1(SALU_CYCLE_1)
	s_add_i32 s25, s25, s26
	v_mov_b32_e32 v8, s25
	;; [unrolled: 30-line block ×4, first 2 shown]
	s_mul_i32 s26, s25, s15
	ds_store_b32 v7, v8 offset:20
	ds_store_b32 v9, v10 offset:20
	ds_load_b32 v8, v6 offset:20
	s_waitcnt lgkmcnt(0)
	v_readfirstlane_b32 s27, v8
	v_mov_b32_e32 v8, s26
	s_delay_alu instid0(VALU_DEP_2) | instskip(NEXT) | instid1(SALU_CYCLE_1)
	s_add_i32 s26, s18, s27
	s_abs_i32 s27, s26
	s_ashr_i32 s26, s26, 31
	s_mul_hi_u32 s28, s27, s23
	s_xor_b32 s26, s26, s20
	s_mul_i32 s29, s28, s19
	s_add_i32 s30, s28, 1
	s_sub_i32 s27, s27, s29
	s_delay_alu instid0(SALU_CYCLE_1)
	s_sub_i32 s29, s27, s19
	s_cmp_ge_u32 s27, s19
	s_cselect_b32 s28, s30, s28
	s_cselect_b32 s27, s29, s27
	s_add_i32 s29, s28, 1
	s_cmp_ge_u32 s27, s19
	s_cselect_b32 s27, s29, s28
	s_delay_alu instid0(SALU_CYCLE_1) | instskip(NEXT) | instid1(SALU_CYCLE_1)
	s_xor_b32 s27, s27, s26
	s_sub_i32 s26, s27, s26
	s_delay_alu instid0(SALU_CYCLE_1) | instskip(NEXT) | instid1(SALU_CYCLE_1)
	s_add_i32 s25, s25, s26
	v_mov_b32_e32 v10, s25
	s_mul_i32 s27, s25, s15
	ds_store_b32 v7, v10 offset:24
	ds_store_b32 v9, v8 offset:24
	ds_load_b32 v8, v6 offset:24
	s_waitcnt lgkmcnt(0)
	v_readfirstlane_b32 s26, v8
	v_mov_b32_e32 v8, s27
	s_delay_alu instid0(VALU_DEP_2) | instskip(NEXT) | instid1(SALU_CYCLE_1)
	s_add_i32 s26, s18, s26
	s_abs_i32 s27, s26
	s_ashr_i32 s26, s26, 31
	s_mul_hi_u32 s28, s27, s23
	s_xor_b32 s26, s26, s20
	s_mul_i32 s29, s28, s19
	s_add_i32 s30, s28, 1
	s_sub_i32 s27, s27, s29
	s_delay_alu instid0(SALU_CYCLE_1)
	s_sub_i32 s29, s27, s19
	s_cmp_ge_u32 s27, s19
	s_cselect_b32 s28, s30, s28
	s_cselect_b32 s27, s29, s27
	s_add_i32 s29, s28, 1
	s_cmp_ge_u32 s27, s19
	s_cselect_b32 s27, s29, s28
	s_delay_alu instid0(SALU_CYCLE_1) | instskip(NEXT) | instid1(SALU_CYCLE_1)
	s_xor_b32 s27, s27, s26
	s_sub_i32 s26, s27, s26
	s_delay_alu instid0(SALU_CYCLE_1) | instskip(NEXT) | instid1(SALU_CYCLE_1)
	s_add_i32 s25, s25, s26
	v_mov_b32_e32 v10, s25
	s_mul_i32 s27, s25, s15
	ds_store_b32 v7, v10 offset:28
	ds_store_b32 v9, v8 offset:28
	ds_load_b32 v6, v6 offset:28
	s_waitcnt lgkmcnt(0)
	v_readfirstlane_b32 s26, v6
	v_mov_b32_e32 v6, s27
	s_delay_alu instid0(VALU_DEP_2) | instskip(NEXT) | instid1(SALU_CYCLE_1)
	s_add_i32 s26, s18, s26
	s_abs_i32 s27, s26
	s_ashr_i32 s26, s26, 31
	s_mul_hi_u32 s28, s27, s23
	s_xor_b32 s26, s26, s20
	s_mul_i32 s29, s28, s19
	s_add_i32 s30, s28, 1
	s_sub_i32 s27, s27, s29
	s_delay_alu instid0(SALU_CYCLE_1)
	s_sub_i32 s29, s27, s19
	s_cmp_ge_u32 s27, s19
	s_cselect_b32 s28, s30, s28
	s_cselect_b32 s27, s29, s27
	s_add_i32 s29, s28, 1
	s_cmp_ge_u32 s27, s19
	s_cselect_b32 s27, s29, s28
	s_add_i32 s24, s24, 8
	s_xor_b32 s27, s27, s26
	s_add_i32 s21, s21, 32
	s_sub_i32 s26, s27, s26
	s_delay_alu instid0(SALU_CYCLE_1)
	s_add_i32 s25, s25, s26
	s_cmp_eq_u32 s0, s24
	v_mov_b32_e32 v8, s25
	ds_store_b32 v7, v8 offset:32
	ds_store_b32 v9, v6 offset:32
	s_cbranch_scc0 .LBB4_12
.LBB4_13:
	s_and_b32 s19, s14, 7
	s_delay_alu instid0(SALU_CYCLE_1)
	s_cmp_eq_u32 s19, 0
	s_cbranch_scc1 .LBB4_16
; %bb.14:
	s_abs_i32 s20, s15
	s_lshl_b32 s0, s0, 2
	v_cvt_f32_u32_e32 v6, s20
	s_sub_i32 s21, 0, s20
	s_lshl_b32 s14, s14, 3
	s_add_i32 s22, s0, 0
	s_delay_alu instid0(VALU_DEP_1) | instskip(SKIP_2) | instid1(VALU_DEP_1)
	v_rcp_iflag_f32_e32 v6, v6
	s_waitcnt_depctr 0xfff
	v_mul_f32_e32 v6, 0x4f7ffffe, v6
	v_cvt_u32_f32_e32 v6, v6
	s_delay_alu instid0(VALU_DEP_1) | instskip(SKIP_1) | instid1(VALU_DEP_1)
	v_mul_lo_u32 v7, s21, v6
	s_ashr_i32 s21, s15, 31
	v_mul_hi_u32 v7, v6, v7
	s_delay_alu instid0(VALU_DEP_1)
	v_dual_mov_b32 v7, s25 :: v_dual_add_nc_u32 v6, v6, v7
	s_set_inst_prefetch_distance 0x1
	.p2align	6
.LBB4_15:                               ; =>This Inner Loop Header: Depth=1
	v_mov_b32_e32 v8, s22
	s_add_i32 s23, s22, s14
	s_add_i32 s19, s19, -1
	ds_load_b32 v8, v8
	s_waitcnt lgkmcnt(0)
	v_add_nc_u32_e32 v8, s18, v8
	s_delay_alu instid0(VALU_DEP_1) | instskip(NEXT) | instid1(VALU_DEP_1)
	v_sub_nc_u32_e32 v9, 0, v8
	v_max_i32_e32 v9, v8, v9
	s_delay_alu instid0(VALU_DEP_1) | instskip(NEXT) | instid1(VALU_DEP_1)
	v_mul_hi_u32 v10, v9, v6
	v_mul_lo_u32 v11, v10, s20
	v_add_nc_u32_e32 v12, 1, v10
	s_delay_alu instid0(VALU_DEP_2) | instskip(NEXT) | instid1(VALU_DEP_1)
	v_sub_nc_u32_e32 v9, v9, v11
	v_subrev_nc_u32_e32 v11, s20, v9
	v_cmp_le_u32_e64 s0, s20, v9
	s_delay_alu instid0(VALU_DEP_1) | instskip(NEXT) | instid1(VALU_DEP_3)
	v_cndmask_b32_e64 v10, v10, v12, s0
	v_cndmask_b32_e64 v9, v9, v11, s0
	s_delay_alu instid0(VALU_DEP_2) | instskip(NEXT) | instid1(VALU_DEP_2)
	v_add_nc_u32_e32 v11, 1, v10
	v_cmp_le_u32_e64 s0, s20, v9
	s_delay_alu instid0(VALU_DEP_1)
	v_cndmask_b32_e64 v9, v10, v11, s0
	v_mov_b32_e32 v11, s23
	v_ashrrev_i32_e32 v8, 31, v8
	s_add_i32 s0, s22, s17
	s_add_i32 s22, s22, 4
	v_mov_b32_e32 v10, s0
	s_cmp_lg_u32 s19, 0
	v_xor_b32_e32 v8, s21, v8
	s_delay_alu instid0(VALU_DEP_1) | instskip(NEXT) | instid1(VALU_DEP_1)
	v_xor_b32_e32 v9, v9, v8
	v_sub_nc_u32_e32 v8, v9, v8
	v_mul_lo_u32 v9, v7, s15
	s_delay_alu instid0(VALU_DEP_2)
	v_add_nc_u32_e32 v8, v7, v8
	ds_store_b32 v10, v8 offset:4
	ds_store_b32 v11, v9 offset:4
	v_mov_b32_e32 v7, v8
	s_cbranch_scc1 .LBB4_15
.LBB4_16:
	s_set_inst_prefetch_distance 0x2
	v_mov_b32_e32 v6, s3
	ds_load_b32 v6, v6
	s_waitcnt lgkmcnt(0)
	v_mul_lo_u32 v6, v6, s15
	global_store_b32 v5, v6, s[10:11]
.LBB4_17:
	s_or_b32 exec_lo, exec_lo, s16
	s_waitcnt_vscnt null, 0x0
	s_barrier
	buffer_gl0_inv
	s_and_saveexec_b32 s10, s2
	s_cbranch_execz .LBB4_21
; %bb.18:
	v_lshl_add_u32 v5, v0, 2, s1
	ds_load_2addr_b32 v[5:6], v5 offset1:1
	s_waitcnt lgkmcnt(0)
	v_cmp_lt_i32_e64 s0, v5, v6
	s_delay_alu instid0(VALU_DEP_1)
	s_and_b32 exec_lo, exec_lo, s0
	s_cbranch_execz .LBB4_21
; %bb.19:
	v_lshl_add_u32 v9, v0, 2, 0
	v_ashrrev_i32_e32 v8, 31, v5
	v_mov_b32_e32 v7, v5
	s_mov_b32 s2, 0
	ds_load_b32 v11, v9
	v_lshlrev_b64 v[9:10], 2, v[7:8]
	s_delay_alu instid0(VALU_DEP_1) | instskip(NEXT) | instid1(VALU_DEP_1)
	v_add_co_u32 v7, s0, s6, v9
	v_add_co_ci_u32_e64 v8, s0, s7, v10, s0
	v_add_co_u32 v9, s0, s8, v9
	s_delay_alu instid0(VALU_DEP_1)
	v_add_co_ci_u32_e64 v10, s0, s9, v10, s0
	.p2align	6
.LBB4_20:                               ; =>This Inner Loop Header: Depth=1
	v_add_nc_u32_e32 v5, 1, v5
	global_store_b32 v[7:8], v0, off
	s_waitcnt lgkmcnt(0)
	global_store_b32 v[9:10], v11, off
	v_add_co_u32 v7, s0, v7, 4
	s_delay_alu instid0(VALU_DEP_1) | instskip(SKIP_4) | instid1(VALU_DEP_4)
	v_add_co_ci_u32_e64 v8, s0, 0, v8, s0
	v_cmp_ge_i32_e64 s0, v5, v6
	v_add_co_u32 v9, s1, v9, 4
	v_subrev_nc_u32_e32 v11, s15, v11
	v_add_co_ci_u32_e64 v10, s1, 0, v10, s1
	s_or_b32 s2, s0, s2
	s_delay_alu instid0(SALU_CYCLE_1)
	s_and_not1_b32 exec_lo, exec_lo, s2
	s_cbranch_execnz .LBB4_20
.LBB4_21:
	s_or_b32 exec_lo, exec_lo, s10
	s_waitcnt_vscnt null, 0x0
	s_barrier
	buffer_gl0_inv
	s_and_saveexec_b32 s0, vcc_lo
	s_cbranch_execz .LBB4_24
; %bb.22:
	v_mov_b32_e32 v0, 1
	s_add_i32 s3, s3, 4
	s_mov_b32 s0, 0
	.p2align	6
.LBB4_23:                               ; =>This Inner Loop Header: Depth=1
	v_lshlrev_b64 v[5:6], 2, v[1:2]
	s_delay_alu instid0(VALU_DEP_1) | instskip(NEXT) | instid1(VALU_DEP_2)
	v_add_co_u32 v5, vcc_lo, s12, v5
	v_add_co_ci_u32_e32 v6, vcc_lo, s13, v6, vcc_lo
	global_load_b32 v2, v[5:6], off
	s_waitcnt vmcnt(0)
	v_lshl_add_u32 v2, v2, 2, s3
	ds_add_rtn_u32 v5, v2, v0
	s_waitcnt lgkmcnt(0)
	v_ashrrev_i32_e32 v6, 31, v5
	s_delay_alu instid0(VALU_DEP_1) | instskip(NEXT) | instid1(VALU_DEP_1)
	v_lshlrev_b64 v[5:6], 2, v[5:6]
	v_add_co_u32 v5, vcc_lo, s4, v5
	s_delay_alu instid0(VALU_DEP_2) | instskip(SKIP_2) | instid1(VALU_DEP_1)
	v_add_co_ci_u32_e32 v6, vcc_lo, s5, v6, vcc_lo
	global_store_b32 v[5:6], v1, off
	v_add_nc_u32_e32 v1, 1, v1
	v_ashrrev_i32_e32 v2, 31, v1
	s_delay_alu instid0(VALU_DEP_1) | instskip(SKIP_1) | instid1(SALU_CYCLE_1)
	v_cmp_le_u64_e32 vcc_lo, v[3:4], v[1:2]
	s_or_b32 s0, vcc_lo, s0
	s_and_not1_b32 exec_lo, exec_lo, s0
	s_cbranch_execnz .LBB4_23
.LBB4_24:
	s_nop 0
	s_sendmsg sendmsg(MSG_DEALLOC_VGPRS)
	s_endpgm
.LBB4_25:
                                        ; implicit-def: $vgpr3_vgpr4
	s_branch .LBB4_2
	.section	.rodata,"a",@progbits
	.p2align	6, 0x0
	.amdhsa_kernel _ZN4vllm27moe_align_block_size_kernelIiEEvPT_PiS3_S3_S3_iim
		.amdhsa_group_segment_fixed_size 0
		.amdhsa_private_segment_fixed_size 0
		.amdhsa_kernarg_size 312
		.amdhsa_user_sgpr_count 15
		.amdhsa_user_sgpr_dispatch_ptr 0
		.amdhsa_user_sgpr_queue_ptr 0
		.amdhsa_user_sgpr_kernarg_segment_ptr 1
		.amdhsa_user_sgpr_dispatch_id 0
		.amdhsa_user_sgpr_private_segment_size 0
		.amdhsa_wavefront_size32 1
		.amdhsa_uses_dynamic_stack 0
		.amdhsa_enable_private_segment 0
		.amdhsa_system_sgpr_workgroup_id_x 1
		.amdhsa_system_sgpr_workgroup_id_y 0
		.amdhsa_system_sgpr_workgroup_id_z 0
		.amdhsa_system_sgpr_workgroup_info 0
		.amdhsa_system_vgpr_workitem_id 0
		.amdhsa_next_free_vgpr 13
		.amdhsa_next_free_sgpr 31
		.amdhsa_reserve_vcc 1
		.amdhsa_float_round_mode_32 0
		.amdhsa_float_round_mode_16_64 0
		.amdhsa_float_denorm_mode_32 3
		.amdhsa_float_denorm_mode_16_64 3
		.amdhsa_dx10_clamp 1
		.amdhsa_ieee_mode 1
		.amdhsa_fp16_overflow 0
		.amdhsa_workgroup_processor_mode 1
		.amdhsa_memory_ordered 1
		.amdhsa_forward_progress 0
		.amdhsa_shared_vgpr_count 0
		.amdhsa_exception_fp_ieee_invalid_op 0
		.amdhsa_exception_fp_denorm_src 0
		.amdhsa_exception_fp_ieee_div_zero 0
		.amdhsa_exception_fp_ieee_overflow 0
		.amdhsa_exception_fp_ieee_underflow 0
		.amdhsa_exception_fp_ieee_inexact 0
		.amdhsa_exception_int_div_zero 0
	.end_amdhsa_kernel
	.section	.text._ZN4vllm27moe_align_block_size_kernelIiEEvPT_PiS3_S3_S3_iim,"axG",@progbits,_ZN4vllm27moe_align_block_size_kernelIiEEvPT_PiS3_S3_S3_iim,comdat
.Lfunc_end4:
	.size	_ZN4vllm27moe_align_block_size_kernelIiEEvPT_PiS3_S3_S3_iim, .Lfunc_end4-_ZN4vllm27moe_align_block_size_kernelIiEEvPT_PiS3_S3_S3_iim
                                        ; -- End function
	.section	.AMDGPU.csdata,"",@progbits
; Kernel info:
; codeLenInByte = 3028
; NumSgprs: 33
; NumVgprs: 13
; ScratchSize: 0
; MemoryBound: 0
; FloatMode: 240
; IeeeMode: 1
; LDSByteSize: 0 bytes/workgroup (compile time only)
; SGPRBlocks: 4
; VGPRBlocks: 1
; NumSGPRsForWavesPerEU: 33
; NumVGPRsForWavesPerEU: 13
; Occupancy: 16
; WaveLimiterHint : 0
; COMPUTE_PGM_RSRC2:SCRATCH_EN: 0
; COMPUTE_PGM_RSRC2:USER_SGPR: 15
; COMPUTE_PGM_RSRC2:TRAP_HANDLER: 0
; COMPUTE_PGM_RSRC2:TGID_X_EN: 1
; COMPUTE_PGM_RSRC2:TGID_Y_EN: 0
; COMPUTE_PGM_RSRC2:TGID_Z_EN: 0
; COMPUTE_PGM_RSRC2:TIDIG_COMP_CNT: 0
	.section	.text._ZN4vllm27moe_align_block_size_kernelIlEEvPT_PiS3_S3_S3_iim,"axG",@progbits,_ZN4vllm27moe_align_block_size_kernelIlEEvPT_PiS3_S3_S3_iim,comdat
	.protected	_ZN4vllm27moe_align_block_size_kernelIlEEvPT_PiS3_S3_S3_iim ; -- Begin function _ZN4vllm27moe_align_block_size_kernelIlEEvPT_PiS3_S3_S3_iim
	.globl	_ZN4vllm27moe_align_block_size_kernelIlEEvPT_PiS3_S3_S3_iim
	.p2align	8
	.type	_ZN4vllm27moe_align_block_size_kernelIlEEvPT_PiS3_S3_S3_iim,@function
_ZN4vllm27moe_align_block_size_kernelIlEEvPT_PiS3_S3_S3_iim: ; @_ZN4vllm27moe_align_block_size_kernelIlEEvPT_PiS3_S3_S3_iim
; %bb.0:
	s_clause 0x1
	s_load_b32 s2, s[0:1], 0x44
	s_load_b64 s[4:5], s[0:1], 0x30
	s_mov_b32 s6, 0
	s_waitcnt lgkmcnt(0)
	s_and_b32 s3, s2, 0xffff
	s_delay_alu instid0(SALU_CYCLE_1) | instskip(SKIP_3) | instid1(SALU_CYCLE_1)
	s_add_u32 s2, s4, s3
	s_addc_u32 s7, s5, 0
	s_add_u32 s8, s2, -1
	s_addc_u32 s7, s7, -1
	s_cmp_lg_u64 s[6:7], 0
	s_cbranch_scc0 .LBB5_25
; %bb.1:
	v_cvt_f32_u32_e32 v1, s3
	s_sub_u32 s10, 0, s3
	s_subb_u32 s11, 0, 0
	s_delay_alu instid0(VALU_DEP_1) | instskip(NEXT) | instid1(VALU_DEP_1)
	v_fmamk_f32 v1, 0, 0x4f800000, v1
	v_rcp_f32_e32 v1, v1
	s_waitcnt_depctr 0xfff
	v_mul_f32_e32 v1, 0x5f7ffffc, v1
	s_delay_alu instid0(VALU_DEP_1) | instskip(NEXT) | instid1(VALU_DEP_1)
	v_mul_f32_e32 v2, 0x2f800000, v1
	v_trunc_f32_e32 v2, v2
	s_delay_alu instid0(VALU_DEP_1) | instskip(SKIP_1) | instid1(VALU_DEP_2)
	v_fmamk_f32 v1, v2, 0xcf800000, v1
	v_cvt_u32_f32_e32 v2, v2
	v_cvt_u32_f32_e32 v1, v1
	s_delay_alu instid0(VALU_DEP_2) | instskip(NEXT) | instid1(VALU_DEP_2)
	v_readfirstlane_b32 s2, v2
	v_readfirstlane_b32 s9, v1
	s_delay_alu instid0(VALU_DEP_2) | instskip(NEXT) | instid1(VALU_DEP_1)
	s_mul_i32 s12, s10, s2
	s_mul_hi_u32 s14, s10, s9
	s_mul_i32 s13, s11, s9
	s_add_i32 s12, s14, s12
	s_mul_i32 s15, s10, s9
	s_add_i32 s12, s12, s13
	s_mul_hi_u32 s14, s9, s15
	s_mul_hi_u32 s16, s2, s15
	s_mul_i32 s13, s2, s15
	s_mul_hi_u32 s15, s9, s12
	s_mul_i32 s9, s9, s12
	s_mul_hi_u32 s17, s2, s12
	s_add_u32 s9, s14, s9
	s_addc_u32 s14, 0, s15
	s_add_u32 s9, s9, s13
	s_mul_i32 s12, s2, s12
	s_addc_u32 s9, s14, s16
	s_addc_u32 s13, s17, 0
	s_add_u32 s9, s9, s12
	s_addc_u32 s12, 0, s13
	v_add_co_u32 v1, s9, v1, s9
	s_delay_alu instid0(VALU_DEP_1) | instskip(SKIP_1) | instid1(VALU_DEP_1)
	s_cmp_lg_u32 s9, 0
	s_addc_u32 s2, s2, s12
	v_readfirstlane_b32 s9, v1
	s_mul_i32 s12, s10, s2
	s_delay_alu instid0(VALU_DEP_1)
	s_mul_hi_u32 s13, s10, s9
	s_mul_i32 s11, s11, s9
	s_add_i32 s12, s13, s12
	s_mul_i32 s10, s10, s9
	s_add_i32 s12, s12, s11
	s_mul_hi_u32 s13, s2, s10
	s_mul_i32 s14, s2, s10
	s_mul_hi_u32 s10, s9, s10
	s_mul_hi_u32 s15, s9, s12
	s_mul_i32 s9, s9, s12
	s_mul_hi_u32 s11, s2, s12
	s_add_u32 s9, s10, s9
	s_addc_u32 s10, 0, s15
	s_add_u32 s9, s9, s14
	s_mul_i32 s12, s2, s12
	s_addc_u32 s9, s10, s13
	s_addc_u32 s10, s11, 0
	s_add_u32 s9, s9, s12
	s_addc_u32 s10, 0, s10
	v_add_co_u32 v1, s9, v1, s9
	s_delay_alu instid0(VALU_DEP_1) | instskip(SKIP_1) | instid1(VALU_DEP_1)
	s_cmp_lg_u32 s9, 0
	s_addc_u32 s2, s2, s10
	v_readfirstlane_b32 s9, v1
	s_mul_i32 s11, s8, s2
	s_mul_hi_u32 s10, s8, s2
	s_mul_hi_u32 s12, s7, s2
	s_mul_i32 s2, s7, s2
	s_mul_hi_u32 s13, s8, s9
	s_mul_hi_u32 s14, s7, s9
	s_mul_i32 s9, s7, s9
	s_add_u32 s11, s13, s11
	s_addc_u32 s10, 0, s10
	s_add_u32 s9, s11, s9
	s_addc_u32 s9, s10, s14
	s_addc_u32 s10, s12, 0
	s_add_u32 s9, s9, s2
	s_addc_u32 s10, 0, s10
	s_mul_i32 s12, s3, s9
	s_add_u32 s11, s9, 1
	v_sub_co_u32 v1, s12, s8, s12
	s_mul_hi_u32 s2, s3, s9
	s_addc_u32 s13, s10, 0
	s_mul_i32 s14, s3, s10
	s_add_u32 s15, s9, 2
	s_addc_u32 s16, s10, 0
	v_mov_b32_e32 v3, s15
	s_add_i32 s2, s2, s14
	s_cmp_lg_u32 s12, 0
	v_sub_co_u32 v2, s12, v1, s3
	s_subb_u32 s2, s7, s2
	s_cmp_lg_u32 s12, 0
	v_mov_b32_e32 v4, s16
	s_delay_alu instid0(VALU_DEP_2) | instskip(SKIP_1) | instid1(SALU_CYCLE_1)
	v_cmp_le_u32_e32 vcc_lo, s3, v2
	s_subb_u32 s7, s2, 0
	s_cmp_eq_u32 s7, 0
	v_cndmask_b32_e64 v2, 0, -1, vcc_lo
	s_cselect_b32 vcc_lo, -1, 0
	s_cmp_eq_u32 s2, 0
	s_cselect_b32 s2, -1, 0
	s_delay_alu instid0(VALU_DEP_1) | instskip(SKIP_2) | instid1(VALU_DEP_3)
	v_cndmask_b32_e32 v2, -1, v2, vcc_lo
	v_cmp_le_u32_e32 vcc_lo, s3, v1
	v_cndmask_b32_e64 v1, 0, -1, vcc_lo
	v_cmp_ne_u32_e32 vcc_lo, 0, v2
	s_delay_alu instid0(VALU_DEP_2) | instskip(SKIP_2) | instid1(VALU_DEP_3)
	v_cndmask_b32_e64 v1, -1, v1, s2
	v_cndmask_b32_e32 v2, s11, v3, vcc_lo
	v_cndmask_b32_e32 v3, s13, v4, vcc_lo
	v_cmp_ne_u32_e32 vcc_lo, 0, v1
	s_delay_alu instid0(VALU_DEP_2) | instskip(NEXT) | instid1(VALU_DEP_4)
	v_cndmask_b32_e32 v4, s10, v3, vcc_lo
	v_cndmask_b32_e32 v3, s9, v2, vcc_lo
	s_and_not1_b32 vcc_lo, exec_lo, s6
	s_cbranch_vccnz .LBB5_3
.LBB5_2:
	v_cvt_f32_u32_e32 v1, s3
	s_sub_i32 s6, 0, s3
	s_delay_alu instid0(VALU_DEP_1) | instskip(SKIP_2) | instid1(VALU_DEP_1)
	v_rcp_iflag_f32_e32 v1, v1
	s_waitcnt_depctr 0xfff
	v_mul_f32_e32 v1, 0x4f7ffffe, v1
	v_cvt_u32_f32_e32 v1, v1
	s_delay_alu instid0(VALU_DEP_1) | instskip(NEXT) | instid1(VALU_DEP_1)
	v_readfirstlane_b32 s2, v1
	s_mul_i32 s6, s6, s2
	s_delay_alu instid0(SALU_CYCLE_1) | instskip(NEXT) | instid1(SALU_CYCLE_1)
	s_mul_hi_u32 s6, s2, s6
	s_add_i32 s2, s2, s6
	s_delay_alu instid0(SALU_CYCLE_1) | instskip(NEXT) | instid1(SALU_CYCLE_1)
	s_mul_hi_u32 s2, s8, s2
	s_mul_i32 s6, s2, s3
	s_add_i32 s7, s2, 1
	s_sub_i32 s6, s8, s6
	s_delay_alu instid0(SALU_CYCLE_1)
	s_sub_i32 s8, s6, s3
	s_cmp_ge_u32 s6, s3
	s_cselect_b32 s2, s7, s2
	s_cselect_b32 s6, s8, s6
	s_add_i32 s7, s2, 1
	s_cmp_ge_u32 s6, s3
	s_mov_b32 s3, 0
	s_cselect_b32 s2, s7, s2
	s_delay_alu instid0(SALU_CYCLE_1)
	v_dual_mov_b32 v4, s3 :: v_dual_mov_b32 v3, s2
.LBB5_3:
	s_clause 0x1
	s_load_b64 s[14:15], s[0:1], 0x28
	s_load_b64 s[12:13], s[0:1], 0x0
	s_waitcnt lgkmcnt(0)
	v_cmp_gt_u32_e64 s2, s14, v0
	s_delay_alu instid0(VALU_DEP_1)
	s_and_saveexec_b32 s3, s2
	s_cbranch_execz .LBB5_5
; %bb.4:
	v_lshl_add_u32 v1, v0, 2, 0
	v_mov_b32_e32 v2, 0
	ds_store_b32 v1, v2
.LBB5_5:
	s_or_b32 exec_lo, exec_lo, s3
	v_mad_u64_u32 v[1:2], null, v3, v0, 0
	s_waitcnt lgkmcnt(0)
	s_barrier
	buffer_gl0_inv
	v_mad_u64_u32 v[5:6], null, v4, v0, v[2:3]
	v_add_co_u32 v2, vcc_lo, v1, v3
	s_delay_alu instid0(VALU_DEP_2) | instskip(NEXT) | instid1(VALU_DEP_1)
	v_add_co_ci_u32_e32 v3, vcc_lo, v5, v4, vcc_lo
	v_cmp_lt_u64_e32 vcc_lo, s[4:5], v[2:3]
	v_cndmask_b32_e64 v4, v3, s5, vcc_lo
	v_cndmask_b32_e64 v3, v2, s4, vcc_lo
	v_ashrrev_i32_e32 v2, 31, v1
	s_delay_alu instid0(VALU_DEP_1)
	v_cmp_lt_u64_e32 vcc_lo, v[1:2], v[3:4]
	s_and_saveexec_b32 s4, vcc_lo
	s_cbranch_execz .LBB5_8
; %bb.6:
	v_dual_mov_b32 v7, 1 :: v_dual_mov_b32 v6, v2
	v_mov_b32_e32 v5, v1
	v_mov_b32_e32 v8, v1
	s_mov_b32 s5, 0
	.p2align	6
.LBB5_7:                                ; =>This Inner Loop Header: Depth=1
	s_delay_alu instid0(VALU_DEP_2) | instskip(NEXT) | instid1(VALU_DEP_1)
	v_lshlrev_b64 v[5:6], 3, v[5:6]
	v_add_co_u32 v5, s3, s12, v5
	s_delay_alu instid0(VALU_DEP_1)
	v_add_co_ci_u32_e64 v6, s3, s13, v6, s3
	global_load_b32 v5, v[5:6], off
	s_waitcnt vmcnt(0)
	v_lshl_add_u32 v5, v5, 2, 0
	ds_add_u32 v5, v7
	v_add_nc_u32_e32 v5, 1, v8
	s_delay_alu instid0(VALU_DEP_1) | instskip(SKIP_1) | instid1(VALU_DEP_2)
	v_ashrrev_i32_e32 v6, 31, v5
	v_mov_b32_e32 v8, v5
	v_cmp_le_u64_e64 s3, v[3:4], v[5:6]
	s_delay_alu instid0(VALU_DEP_1) | instskip(NEXT) | instid1(SALU_CYCLE_1)
	s_or_b32 s5, s3, s5
	s_and_not1_b32 exec_lo, exec_lo, s5
	s_cbranch_execnz .LBB5_7
.LBB5_8:
	s_or_b32 exec_lo, exec_lo, s4
	s_load_b256 s[4:11], s[0:1], 0x8
	s_lshl_b32 s17, s14, 2
	s_mov_b32 s16, exec_lo
	s_add_i32 s1, s17, 0
	s_waitcnt lgkmcnt(0)
	s_add_i32 s3, s1, s17
	s_barrier
	buffer_gl0_inv
	v_cmpx_eq_u32_e32 0, v0
	s_cbranch_execz .LBB5_17
; %bb.9:
	v_dual_mov_b32 v5, 0 :: v_dual_mov_b32 v6, s1
	s_cmp_lt_i32 s14, 1
	ds_store_b32 v6, v5
	s_cbranch_scc1 .LBB5_16
; %bb.10:
	s_add_i32 s18, s15, -1
	s_mov_b32 s0, 0
	s_cmp_lt_u32 s14, 8
	s_mov_b32 s25, 0
	s_cbranch_scc1 .LBB5_13
; %bb.11:
	s_abs_i32 s19, s15
	s_and_b32 s0, s14, 0x7ffffff8
	v_cvt_f32_u32_e32 v6, s19
	s_sub_i32 s22, 0, s19
	s_ashr_i32 s20, s15, 31
	s_mov_b32 s21, 0
	s_delay_alu instid0(VALU_DEP_1) | instskip(SKIP_2) | instid1(VALU_DEP_1)
	v_rcp_iflag_f32_e32 v6, v6
	s_waitcnt_depctr 0xfff
	v_mul_f32_e32 v6, 0x4f7ffffe, v6
	v_cvt_u32_f32_e32 v6, v6
	s_delay_alu instid0(VALU_DEP_1) | instskip(NEXT) | instid1(VALU_DEP_1)
	v_readfirstlane_b32 s23, v6
	s_mul_i32 s24, s22, s23
	s_lshl_b32 s22, s14, 3
	s_mul_hi_u32 s24, s23, s24
	s_delay_alu instid0(SALU_CYCLE_1)
	s_add_i32 s23, s23, s24
	s_mov_b32 s24, 0
.LBB5_12:                               ; =>This Inner Loop Header: Depth=1
	v_mov_b32_e32 v6, s21
	s_mul_i32 s26, s25, s15
	s_delay_alu instid0(SALU_CYCLE_1) | instskip(SKIP_3) | instid1(VALU_DEP_1)
	v_mov_b32_e32 v8, s26
	ds_load_b32 v7, v6
	s_waitcnt lgkmcnt(0)
	v_readfirstlane_b32 s26, v7
	s_add_i32 s26, s18, s26
	s_delay_alu instid0(SALU_CYCLE_1)
	s_abs_i32 s27, s26
	s_ashr_i32 s26, s26, 31
	s_mul_hi_u32 s28, s27, s23
	s_xor_b32 s26, s26, s20
	s_mul_i32 s29, s28, s19
	s_add_i32 s30, s28, 1
	s_sub_i32 s27, s27, s29
	s_delay_alu instid0(SALU_CYCLE_1)
	s_sub_i32 s29, s27, s19
	s_cmp_ge_u32 s27, s19
	s_cselect_b32 s28, s30, s28
	s_cselect_b32 s27, s29, s27
	s_add_i32 s29, s28, 1
	s_cmp_ge_u32 s27, s19
	s_cselect_b32 s27, s29, s28
	s_add_i32 s28, s21, s17
	s_xor_b32 s27, s27, s26
	s_add_i32 s29, s21, s22
	s_sub_i32 s26, s27, s26
	v_mov_b32_e32 v9, s29
	s_add_i32 s25, s25, s26
	s_delay_alu instid0(SALU_CYCLE_1)
	v_dual_mov_b32 v7, s28 :: v_dual_mov_b32 v10, s25
	s_mul_i32 s26, s25, s15
	ds_store_b32 v7, v10 offset:4
	ds_store_b32 v9, v8 offset:4
	ds_load_b32 v8, v6 offset:4
	v_mov_b32_e32 v10, s26
	s_waitcnt lgkmcnt(0)
	v_readfirstlane_b32 s26, v8
	s_delay_alu instid0(VALU_DEP_1) | instskip(NEXT) | instid1(SALU_CYCLE_1)
	s_add_i32 s26, s18, s26
	s_abs_i32 s27, s26
	s_ashr_i32 s26, s26, 31
	s_mul_hi_u32 s28, s27, s23
	s_xor_b32 s26, s26, s20
	s_mul_i32 s29, s28, s19
	s_add_i32 s30, s28, 1
	s_sub_i32 s27, s27, s29
	s_delay_alu instid0(SALU_CYCLE_1)
	s_sub_i32 s29, s27, s19
	s_cmp_ge_u32 s27, s19
	s_cselect_b32 s28, s30, s28
	s_cselect_b32 s27, s29, s27
	s_add_i32 s29, s28, 1
	s_cmp_ge_u32 s27, s19
	s_cselect_b32 s27, s29, s28
	s_delay_alu instid0(SALU_CYCLE_1) | instskip(NEXT) | instid1(SALU_CYCLE_1)
	s_xor_b32 s27, s27, s26
	s_sub_i32 s26, s27, s26
	s_delay_alu instid0(SALU_CYCLE_1) | instskip(NEXT) | instid1(SALU_CYCLE_1)
	s_add_i32 s25, s25, s26
	v_mov_b32_e32 v8, s25
	s_mul_i32 s26, s25, s15
	ds_store_b32 v7, v8 offset:8
	ds_store_b32 v9, v10 offset:8
	ds_load_b32 v8, v6 offset:8
	v_mov_b32_e32 v10, s26
	s_waitcnt lgkmcnt(0)
	v_readfirstlane_b32 s26, v8
	s_delay_alu instid0(VALU_DEP_1) | instskip(NEXT) | instid1(SALU_CYCLE_1)
	s_add_i32 s26, s18, s26
	s_abs_i32 s27, s26
	s_ashr_i32 s26, s26, 31
	s_mul_hi_u32 s28, s27, s23
	s_xor_b32 s26, s26, s20
	s_mul_i32 s29, s28, s19
	s_add_i32 s30, s28, 1
	s_sub_i32 s27, s27, s29
	s_delay_alu instid0(SALU_CYCLE_1)
	s_sub_i32 s29, s27, s19
	s_cmp_ge_u32 s27, s19
	s_cselect_b32 s28, s30, s28
	s_cselect_b32 s27, s29, s27
	s_add_i32 s29, s28, 1
	s_cmp_ge_u32 s27, s19
	s_cselect_b32 s27, s29, s28
	s_delay_alu instid0(SALU_CYCLE_1) | instskip(NEXT) | instid1(SALU_CYCLE_1)
	s_xor_b32 s27, s27, s26
	s_sub_i32 s26, s27, s26
	s_delay_alu instid0(SALU_CYCLE_1) | instskip(NEXT) | instid1(SALU_CYCLE_1)
	s_add_i32 s25, s25, s26
	v_mov_b32_e32 v8, s25
	;; [unrolled: 30-line block ×4, first 2 shown]
	s_mul_i32 s26, s25, s15
	ds_store_b32 v7, v8 offset:20
	ds_store_b32 v9, v10 offset:20
	ds_load_b32 v8, v6 offset:20
	s_waitcnt lgkmcnt(0)
	v_readfirstlane_b32 s27, v8
	v_mov_b32_e32 v8, s26
	s_delay_alu instid0(VALU_DEP_2) | instskip(NEXT) | instid1(SALU_CYCLE_1)
	s_add_i32 s26, s18, s27
	s_abs_i32 s27, s26
	s_ashr_i32 s26, s26, 31
	s_mul_hi_u32 s28, s27, s23
	s_xor_b32 s26, s26, s20
	s_mul_i32 s29, s28, s19
	s_add_i32 s30, s28, 1
	s_sub_i32 s27, s27, s29
	s_delay_alu instid0(SALU_CYCLE_1)
	s_sub_i32 s29, s27, s19
	s_cmp_ge_u32 s27, s19
	s_cselect_b32 s28, s30, s28
	s_cselect_b32 s27, s29, s27
	s_add_i32 s29, s28, 1
	s_cmp_ge_u32 s27, s19
	s_cselect_b32 s27, s29, s28
	s_delay_alu instid0(SALU_CYCLE_1) | instskip(NEXT) | instid1(SALU_CYCLE_1)
	s_xor_b32 s27, s27, s26
	s_sub_i32 s26, s27, s26
	s_delay_alu instid0(SALU_CYCLE_1) | instskip(NEXT) | instid1(SALU_CYCLE_1)
	s_add_i32 s25, s25, s26
	v_mov_b32_e32 v10, s25
	s_mul_i32 s27, s25, s15
	ds_store_b32 v7, v10 offset:24
	ds_store_b32 v9, v8 offset:24
	ds_load_b32 v8, v6 offset:24
	s_waitcnt lgkmcnt(0)
	v_readfirstlane_b32 s26, v8
	v_mov_b32_e32 v8, s27
	s_delay_alu instid0(VALU_DEP_2) | instskip(NEXT) | instid1(SALU_CYCLE_1)
	s_add_i32 s26, s18, s26
	s_abs_i32 s27, s26
	s_ashr_i32 s26, s26, 31
	s_mul_hi_u32 s28, s27, s23
	s_xor_b32 s26, s26, s20
	s_mul_i32 s29, s28, s19
	s_add_i32 s30, s28, 1
	s_sub_i32 s27, s27, s29
	s_delay_alu instid0(SALU_CYCLE_1)
	s_sub_i32 s29, s27, s19
	s_cmp_ge_u32 s27, s19
	s_cselect_b32 s28, s30, s28
	s_cselect_b32 s27, s29, s27
	s_add_i32 s29, s28, 1
	s_cmp_ge_u32 s27, s19
	s_cselect_b32 s27, s29, s28
	s_delay_alu instid0(SALU_CYCLE_1) | instskip(NEXT) | instid1(SALU_CYCLE_1)
	s_xor_b32 s27, s27, s26
	s_sub_i32 s26, s27, s26
	s_delay_alu instid0(SALU_CYCLE_1) | instskip(NEXT) | instid1(SALU_CYCLE_1)
	s_add_i32 s25, s25, s26
	v_mov_b32_e32 v10, s25
	s_mul_i32 s27, s25, s15
	ds_store_b32 v7, v10 offset:28
	ds_store_b32 v9, v8 offset:28
	ds_load_b32 v6, v6 offset:28
	s_waitcnt lgkmcnt(0)
	v_readfirstlane_b32 s26, v6
	v_mov_b32_e32 v6, s27
	s_delay_alu instid0(VALU_DEP_2) | instskip(NEXT) | instid1(SALU_CYCLE_1)
	s_add_i32 s26, s18, s26
	s_abs_i32 s27, s26
	s_ashr_i32 s26, s26, 31
	s_mul_hi_u32 s28, s27, s23
	s_xor_b32 s26, s26, s20
	s_mul_i32 s29, s28, s19
	s_add_i32 s30, s28, 1
	s_sub_i32 s27, s27, s29
	s_delay_alu instid0(SALU_CYCLE_1)
	s_sub_i32 s29, s27, s19
	s_cmp_ge_u32 s27, s19
	s_cselect_b32 s28, s30, s28
	s_cselect_b32 s27, s29, s27
	s_add_i32 s29, s28, 1
	s_cmp_ge_u32 s27, s19
	s_cselect_b32 s27, s29, s28
	s_add_i32 s24, s24, 8
	s_xor_b32 s27, s27, s26
	s_add_i32 s21, s21, 32
	s_sub_i32 s26, s27, s26
	s_delay_alu instid0(SALU_CYCLE_1)
	s_add_i32 s25, s25, s26
	s_cmp_eq_u32 s0, s24
	v_mov_b32_e32 v8, s25
	ds_store_b32 v7, v8 offset:32
	ds_store_b32 v9, v6 offset:32
	s_cbranch_scc0 .LBB5_12
.LBB5_13:
	s_and_b32 s19, s14, 7
	s_delay_alu instid0(SALU_CYCLE_1)
	s_cmp_eq_u32 s19, 0
	s_cbranch_scc1 .LBB5_16
; %bb.14:
	s_abs_i32 s20, s15
	s_lshl_b32 s0, s0, 2
	v_cvt_f32_u32_e32 v6, s20
	s_sub_i32 s21, 0, s20
	s_lshl_b32 s14, s14, 3
	s_add_i32 s22, s0, 0
	s_delay_alu instid0(VALU_DEP_1) | instskip(SKIP_2) | instid1(VALU_DEP_1)
	v_rcp_iflag_f32_e32 v6, v6
	s_waitcnt_depctr 0xfff
	v_mul_f32_e32 v6, 0x4f7ffffe, v6
	v_cvt_u32_f32_e32 v6, v6
	s_delay_alu instid0(VALU_DEP_1) | instskip(SKIP_1) | instid1(VALU_DEP_1)
	v_mul_lo_u32 v7, s21, v6
	s_ashr_i32 s21, s15, 31
	v_mul_hi_u32 v7, v6, v7
	s_delay_alu instid0(VALU_DEP_1)
	v_dual_mov_b32 v7, s25 :: v_dual_add_nc_u32 v6, v6, v7
	s_set_inst_prefetch_distance 0x1
	.p2align	6
.LBB5_15:                               ; =>This Inner Loop Header: Depth=1
	v_mov_b32_e32 v8, s22
	s_add_i32 s23, s22, s14
	s_add_i32 s19, s19, -1
	ds_load_b32 v8, v8
	s_waitcnt lgkmcnt(0)
	v_add_nc_u32_e32 v8, s18, v8
	s_delay_alu instid0(VALU_DEP_1) | instskip(NEXT) | instid1(VALU_DEP_1)
	v_sub_nc_u32_e32 v9, 0, v8
	v_max_i32_e32 v9, v8, v9
	s_delay_alu instid0(VALU_DEP_1) | instskip(NEXT) | instid1(VALU_DEP_1)
	v_mul_hi_u32 v10, v9, v6
	v_mul_lo_u32 v11, v10, s20
	v_add_nc_u32_e32 v12, 1, v10
	s_delay_alu instid0(VALU_DEP_2) | instskip(NEXT) | instid1(VALU_DEP_1)
	v_sub_nc_u32_e32 v9, v9, v11
	v_subrev_nc_u32_e32 v11, s20, v9
	v_cmp_le_u32_e64 s0, s20, v9
	s_delay_alu instid0(VALU_DEP_1) | instskip(NEXT) | instid1(VALU_DEP_3)
	v_cndmask_b32_e64 v10, v10, v12, s0
	v_cndmask_b32_e64 v9, v9, v11, s0
	s_delay_alu instid0(VALU_DEP_2) | instskip(NEXT) | instid1(VALU_DEP_2)
	v_add_nc_u32_e32 v11, 1, v10
	v_cmp_le_u32_e64 s0, s20, v9
	s_delay_alu instid0(VALU_DEP_1)
	v_cndmask_b32_e64 v9, v10, v11, s0
	v_mov_b32_e32 v11, s23
	v_ashrrev_i32_e32 v8, 31, v8
	s_add_i32 s0, s22, s17
	s_add_i32 s22, s22, 4
	v_mov_b32_e32 v10, s0
	s_cmp_lg_u32 s19, 0
	v_xor_b32_e32 v8, s21, v8
	s_delay_alu instid0(VALU_DEP_1) | instskip(NEXT) | instid1(VALU_DEP_1)
	v_xor_b32_e32 v9, v9, v8
	v_sub_nc_u32_e32 v8, v9, v8
	v_mul_lo_u32 v9, v7, s15
	s_delay_alu instid0(VALU_DEP_2)
	v_add_nc_u32_e32 v8, v7, v8
	ds_store_b32 v10, v8 offset:4
	ds_store_b32 v11, v9 offset:4
	v_mov_b32_e32 v7, v8
	s_cbranch_scc1 .LBB5_15
.LBB5_16:
	s_set_inst_prefetch_distance 0x2
	v_mov_b32_e32 v6, s3
	ds_load_b32 v6, v6
	s_waitcnt lgkmcnt(0)
	v_mul_lo_u32 v6, v6, s15
	global_store_b32 v5, v6, s[10:11]
.LBB5_17:
	s_or_b32 exec_lo, exec_lo, s16
	s_waitcnt_vscnt null, 0x0
	s_barrier
	buffer_gl0_inv
	s_and_saveexec_b32 s10, s2
	s_cbranch_execz .LBB5_21
; %bb.18:
	v_lshl_add_u32 v5, v0, 2, s1
	ds_load_2addr_b32 v[5:6], v5 offset1:1
	s_waitcnt lgkmcnt(0)
	v_cmp_lt_i32_e64 s0, v5, v6
	s_delay_alu instid0(VALU_DEP_1)
	s_and_b32 exec_lo, exec_lo, s0
	s_cbranch_execz .LBB5_21
; %bb.19:
	v_lshl_add_u32 v9, v0, 2, 0
	v_ashrrev_i32_e32 v8, 31, v5
	v_mov_b32_e32 v7, v5
	s_mov_b32 s2, 0
	ds_load_b32 v11, v9
	v_lshlrev_b64 v[9:10], 2, v[7:8]
	s_delay_alu instid0(VALU_DEP_1) | instskip(NEXT) | instid1(VALU_DEP_1)
	v_add_co_u32 v7, s0, s6, v9
	v_add_co_ci_u32_e64 v8, s0, s7, v10, s0
	v_add_co_u32 v9, s0, s8, v9
	s_delay_alu instid0(VALU_DEP_1)
	v_add_co_ci_u32_e64 v10, s0, s9, v10, s0
	.p2align	6
.LBB5_20:                               ; =>This Inner Loop Header: Depth=1
	v_add_nc_u32_e32 v5, 1, v5
	global_store_b32 v[7:8], v0, off
	s_waitcnt lgkmcnt(0)
	global_store_b32 v[9:10], v11, off
	v_add_co_u32 v7, s0, v7, 4
	s_delay_alu instid0(VALU_DEP_1) | instskip(SKIP_4) | instid1(VALU_DEP_4)
	v_add_co_ci_u32_e64 v8, s0, 0, v8, s0
	v_cmp_ge_i32_e64 s0, v5, v6
	v_add_co_u32 v9, s1, v9, 4
	v_subrev_nc_u32_e32 v11, s15, v11
	v_add_co_ci_u32_e64 v10, s1, 0, v10, s1
	s_or_b32 s2, s0, s2
	s_delay_alu instid0(SALU_CYCLE_1)
	s_and_not1_b32 exec_lo, exec_lo, s2
	s_cbranch_execnz .LBB5_20
.LBB5_21:
	s_or_b32 exec_lo, exec_lo, s10
	s_waitcnt_vscnt null, 0x0
	s_barrier
	buffer_gl0_inv
	s_and_saveexec_b32 s0, vcc_lo
	s_cbranch_execz .LBB5_24
; %bb.22:
	v_mov_b32_e32 v0, 1
	s_mov_b32 s0, 0
	.p2align	6
.LBB5_23:                               ; =>This Inner Loop Header: Depth=1
	v_lshlrev_b64 v[5:6], 3, v[1:2]
	s_delay_alu instid0(VALU_DEP_1) | instskip(NEXT) | instid1(VALU_DEP_2)
	v_add_co_u32 v5, vcc_lo, s12, v5
	v_add_co_ci_u32_e32 v6, vcc_lo, s13, v6, vcc_lo
	global_load_b32 v2, v[5:6], off
	s_waitcnt vmcnt(0)
	v_lshl_add_u32 v2, v2, 2, s3
	ds_add_rtn_u32 v5, v2, v0 offset:4
	s_waitcnt lgkmcnt(0)
	v_ashrrev_i32_e32 v6, 31, v5
	s_delay_alu instid0(VALU_DEP_1) | instskip(NEXT) | instid1(VALU_DEP_1)
	v_lshlrev_b64 v[5:6], 2, v[5:6]
	v_add_co_u32 v5, vcc_lo, s4, v5
	s_delay_alu instid0(VALU_DEP_2) | instskip(SKIP_2) | instid1(VALU_DEP_1)
	v_add_co_ci_u32_e32 v6, vcc_lo, s5, v6, vcc_lo
	global_store_b32 v[5:6], v1, off
	v_add_nc_u32_e32 v1, 1, v1
	v_ashrrev_i32_e32 v2, 31, v1
	s_delay_alu instid0(VALU_DEP_1) | instskip(SKIP_1) | instid1(SALU_CYCLE_1)
	v_cmp_le_u64_e32 vcc_lo, v[3:4], v[1:2]
	s_or_b32 s0, vcc_lo, s0
	s_and_not1_b32 exec_lo, exec_lo, s0
	s_cbranch_execnz .LBB5_23
.LBB5_24:
	s_nop 0
	s_sendmsg sendmsg(MSG_DEALLOC_VGPRS)
	s_endpgm
.LBB5_25:
                                        ; implicit-def: $vgpr3_vgpr4
	s_branch .LBB5_2
	.section	.rodata,"a",@progbits
	.p2align	6, 0x0
	.amdhsa_kernel _ZN4vllm27moe_align_block_size_kernelIlEEvPT_PiS3_S3_S3_iim
		.amdhsa_group_segment_fixed_size 0
		.amdhsa_private_segment_fixed_size 0
		.amdhsa_kernarg_size 312
		.amdhsa_user_sgpr_count 15
		.amdhsa_user_sgpr_dispatch_ptr 0
		.amdhsa_user_sgpr_queue_ptr 0
		.amdhsa_user_sgpr_kernarg_segment_ptr 1
		.amdhsa_user_sgpr_dispatch_id 0
		.amdhsa_user_sgpr_private_segment_size 0
		.amdhsa_wavefront_size32 1
		.amdhsa_uses_dynamic_stack 0
		.amdhsa_enable_private_segment 0
		.amdhsa_system_sgpr_workgroup_id_x 1
		.amdhsa_system_sgpr_workgroup_id_y 0
		.amdhsa_system_sgpr_workgroup_id_z 0
		.amdhsa_system_sgpr_workgroup_info 0
		.amdhsa_system_vgpr_workitem_id 0
		.amdhsa_next_free_vgpr 13
		.amdhsa_next_free_sgpr 31
		.amdhsa_reserve_vcc 1
		.amdhsa_float_round_mode_32 0
		.amdhsa_float_round_mode_16_64 0
		.amdhsa_float_denorm_mode_32 3
		.amdhsa_float_denorm_mode_16_64 3
		.amdhsa_dx10_clamp 1
		.amdhsa_ieee_mode 1
		.amdhsa_fp16_overflow 0
		.amdhsa_workgroup_processor_mode 1
		.amdhsa_memory_ordered 1
		.amdhsa_forward_progress 0
		.amdhsa_shared_vgpr_count 0
		.amdhsa_exception_fp_ieee_invalid_op 0
		.amdhsa_exception_fp_denorm_src 0
		.amdhsa_exception_fp_ieee_div_zero 0
		.amdhsa_exception_fp_ieee_overflow 0
		.amdhsa_exception_fp_ieee_underflow 0
		.amdhsa_exception_fp_ieee_inexact 0
		.amdhsa_exception_int_div_zero 0
	.end_amdhsa_kernel
	.section	.text._ZN4vllm27moe_align_block_size_kernelIlEEvPT_PiS3_S3_S3_iim,"axG",@progbits,_ZN4vllm27moe_align_block_size_kernelIlEEvPT_PiS3_S3_S3_iim,comdat
.Lfunc_end5:
	.size	_ZN4vllm27moe_align_block_size_kernelIlEEvPT_PiS3_S3_S3_iim, .Lfunc_end5-_ZN4vllm27moe_align_block_size_kernelIlEEvPT_PiS3_S3_S3_iim
                                        ; -- End function
	.section	.AMDGPU.csdata,"",@progbits
; Kernel info:
; codeLenInByte = 3024
; NumSgprs: 33
; NumVgprs: 13
; ScratchSize: 0
; MemoryBound: 0
; FloatMode: 240
; IeeeMode: 1
; LDSByteSize: 0 bytes/workgroup (compile time only)
; SGPRBlocks: 4
; VGPRBlocks: 1
; NumSGPRsForWavesPerEU: 33
; NumVGPRsForWavesPerEU: 13
; Occupancy: 16
; WaveLimiterHint : 0
; COMPUTE_PGM_RSRC2:SCRATCH_EN: 0
; COMPUTE_PGM_RSRC2:USER_SGPR: 15
; COMPUTE_PGM_RSRC2:TRAP_HANDLER: 0
; COMPUTE_PGM_RSRC2:TGID_X_EN: 1
; COMPUTE_PGM_RSRC2:TGID_Y_EN: 0
; COMPUTE_PGM_RSRC2:TGID_Z_EN: 0
; COMPUTE_PGM_RSRC2:TIDIG_COMP_CNT: 0
	.text
	.p2alignl 7, 3214868480
	.fill 96, 4, 3214868480
	.type	__hip_cuid_f9c6e16f0b547a3,@object ; @__hip_cuid_f9c6e16f0b547a3
	.section	.bss,"aw",@nobits
	.globl	__hip_cuid_f9c6e16f0b547a3
__hip_cuid_f9c6e16f0b547a3:
	.byte	0                               ; 0x0
	.size	__hip_cuid_f9c6e16f0b547a3, 1

	.ident	"AMD clang version 19.0.0git (https://github.com/RadeonOpenCompute/llvm-project roc-6.4.0 25133 c7fe45cf4b819c5991fe208aaa96edf142730f1d)"
	.section	".note.GNU-stack","",@progbits
	.addrsig
	.addrsig_sym _ZN4vllm10shared_memE
	.addrsig_sym __hip_cuid_f9c6e16f0b547a3
	.amdgpu_metadata
---
amdhsa.kernels:
  - .args:           []
    .group_segment_fixed_size: 0
    .kernarg_segment_align: 4
    .kernarg_segment_size: 0
    .language:       OpenCL C
    .language_version:
      - 2
      - 0
    .max_flat_workgroup_size: 1024
    .name:           _ZN7ck_tileL11flush_cacheEv
    .private_segment_fixed_size: 0
    .sgpr_count:     0
    .sgpr_spill_count: 0
    .symbol:         _ZN7ck_tileL11flush_cacheEv.kd
    .uniform_work_group_size: 1
    .uses_dynamic_stack: false
    .vgpr_count:     0
    .vgpr_spill_count: 0
    .wavefront_size: 32
    .workgroup_processor_mode: 1
  - .args:
      - .actual_access:  read_only
        .address_space:  global
        .offset:         0
        .size:           8
        .value_kind:     global_buffer
      - .address_space:  global
        .offset:         8
        .size:           8
        .value_kind:     global_buffer
      - .address_space:  global
        .offset:         16
        .size:           8
        .value_kind:     global_buffer
      - .address_space:  global
        .offset:         24
        .size:           8
        .value_kind:     global_buffer
      - .address_space:  global
        .offset:         32
        .size:           8
        .value_kind:     global_buffer
      - .offset:         40
        .size:           4
        .value_kind:     by_value
      - .offset:         44
        .size:           4
        .value_kind:     by_value
      - .offset:         48
        .size:           8
        .value_kind:     by_value
      - .offset:         56
        .size:           4
        .value_kind:     hidden_block_count_x
      - .offset:         60
        .size:           4
        .value_kind:     hidden_block_count_y
      - .offset:         64
        .size:           4
        .value_kind:     hidden_block_count_z
      - .offset:         68
        .size:           2
        .value_kind:     hidden_group_size_x
      - .offset:         70
        .size:           2
        .value_kind:     hidden_group_size_y
      - .offset:         72
        .size:           2
        .value_kind:     hidden_group_size_z
      - .offset:         74
        .size:           2
        .value_kind:     hidden_remainder_x
      - .offset:         76
        .size:           2
        .value_kind:     hidden_remainder_y
      - .offset:         78
        .size:           2
        .value_kind:     hidden_remainder_z
      - .offset:         96
        .size:           8
        .value_kind:     hidden_global_offset_x
      - .offset:         104
        .size:           8
        .value_kind:     hidden_global_offset_y
      - .offset:         112
        .size:           8
        .value_kind:     hidden_global_offset_z
      - .offset:         120
        .size:           2
        .value_kind:     hidden_grid_dims
      - .offset:         176
        .size:           4
        .value_kind:     hidden_dynamic_lds_size
    .group_segment_fixed_size: 0
    .kernarg_segment_align: 8
    .kernarg_segment_size: 312
    .language:       OpenCL C
    .language_version:
      - 2
      - 0
    .max_flat_workgroup_size: 1024
    .name:           _ZN4vllm27moe_align_block_size_kernelIhEEvPT_PiS3_S3_S3_iim
    .private_segment_fixed_size: 0
    .sgpr_count:     33
    .sgpr_spill_count: 0
    .symbol:         _ZN4vllm27moe_align_block_size_kernelIhEEvPT_PiS3_S3_S3_iim.kd
    .uniform_work_group_size: 1
    .uses_dynamic_stack: false
    .vgpr_count:     13
    .vgpr_spill_count: 0
    .wavefront_size: 32
    .workgroup_processor_mode: 1
  - .args:
      - .actual_access:  read_only
        .address_space:  global
        .offset:         0
        .size:           8
        .value_kind:     global_buffer
      - .address_space:  global
        .offset:         8
        .size:           8
        .value_kind:     global_buffer
      - .address_space:  global
        .offset:         16
        .size:           8
        .value_kind:     global_buffer
      - .address_space:  global
        .offset:         24
        .size:           8
        .value_kind:     global_buffer
      - .address_space:  global
        .offset:         32
        .size:           8
        .value_kind:     global_buffer
      - .offset:         40
        .size:           4
        .value_kind:     by_value
      - .offset:         44
        .size:           4
        .value_kind:     by_value
      - .offset:         48
        .size:           8
        .value_kind:     by_value
      - .offset:         56
        .size:           4
        .value_kind:     hidden_block_count_x
      - .offset:         60
        .size:           4
        .value_kind:     hidden_block_count_y
      - .offset:         64
        .size:           4
        .value_kind:     hidden_block_count_z
      - .offset:         68
        .size:           2
        .value_kind:     hidden_group_size_x
      - .offset:         70
        .size:           2
        .value_kind:     hidden_group_size_y
      - .offset:         72
        .size:           2
        .value_kind:     hidden_group_size_z
      - .offset:         74
        .size:           2
        .value_kind:     hidden_remainder_x
      - .offset:         76
        .size:           2
        .value_kind:     hidden_remainder_y
      - .offset:         78
        .size:           2
        .value_kind:     hidden_remainder_z
      - .offset:         96
        .size:           8
        .value_kind:     hidden_global_offset_x
      - .offset:         104
        .size:           8
        .value_kind:     hidden_global_offset_y
      - .offset:         112
        .size:           8
        .value_kind:     hidden_global_offset_z
      - .offset:         120
        .size:           2
        .value_kind:     hidden_grid_dims
      - .offset:         176
        .size:           4
        .value_kind:     hidden_dynamic_lds_size
    .group_segment_fixed_size: 0
    .kernarg_segment_align: 8
    .kernarg_segment_size: 312
    .language:       OpenCL C
    .language_version:
      - 2
      - 0
    .max_flat_workgroup_size: 1024
    .name:           _ZN4vllm27moe_align_block_size_kernelIaEEvPT_PiS3_S3_S3_iim
    .private_segment_fixed_size: 0
    .sgpr_count:     33
    .sgpr_spill_count: 0
    .symbol:         _ZN4vllm27moe_align_block_size_kernelIaEEvPT_PiS3_S3_S3_iim.kd
    .uniform_work_group_size: 1
    .uses_dynamic_stack: false
    .vgpr_count:     13
    .vgpr_spill_count: 0
    .wavefront_size: 32
    .workgroup_processor_mode: 1
  - .args:
      - .actual_access:  read_only
        .address_space:  global
        .offset:         0
        .size:           8
        .value_kind:     global_buffer
      - .address_space:  global
        .offset:         8
        .size:           8
        .value_kind:     global_buffer
      - .address_space:  global
        .offset:         16
        .size:           8
        .value_kind:     global_buffer
      - .address_space:  global
        .offset:         24
        .size:           8
        .value_kind:     global_buffer
      - .address_space:  global
        .offset:         32
        .size:           8
        .value_kind:     global_buffer
      - .offset:         40
        .size:           4
        .value_kind:     by_value
      - .offset:         44
        .size:           4
        .value_kind:     by_value
      - .offset:         48
        .size:           8
        .value_kind:     by_value
      - .offset:         56
        .size:           4
        .value_kind:     hidden_block_count_x
      - .offset:         60
        .size:           4
        .value_kind:     hidden_block_count_y
      - .offset:         64
        .size:           4
        .value_kind:     hidden_block_count_z
      - .offset:         68
        .size:           2
        .value_kind:     hidden_group_size_x
      - .offset:         70
        .size:           2
        .value_kind:     hidden_group_size_y
      - .offset:         72
        .size:           2
        .value_kind:     hidden_group_size_z
      - .offset:         74
        .size:           2
        .value_kind:     hidden_remainder_x
      - .offset:         76
        .size:           2
        .value_kind:     hidden_remainder_y
      - .offset:         78
        .size:           2
        .value_kind:     hidden_remainder_z
      - .offset:         96
        .size:           8
        .value_kind:     hidden_global_offset_x
      - .offset:         104
        .size:           8
        .value_kind:     hidden_global_offset_y
      - .offset:         112
        .size:           8
        .value_kind:     hidden_global_offset_z
      - .offset:         120
        .size:           2
        .value_kind:     hidden_grid_dims
      - .offset:         176
        .size:           4
        .value_kind:     hidden_dynamic_lds_size
    .group_segment_fixed_size: 0
    .kernarg_segment_align: 8
    .kernarg_segment_size: 312
    .language:       OpenCL C
    .language_version:
      - 2
      - 0
    .max_flat_workgroup_size: 1024
    .name:           _ZN4vllm27moe_align_block_size_kernelIsEEvPT_PiS3_S3_S3_iim
    .private_segment_fixed_size: 0
    .sgpr_count:     33
    .sgpr_spill_count: 0
    .symbol:         _ZN4vllm27moe_align_block_size_kernelIsEEvPT_PiS3_S3_S3_iim.kd
    .uniform_work_group_size: 1
    .uses_dynamic_stack: false
    .vgpr_count:     13
    .vgpr_spill_count: 0
    .wavefront_size: 32
    .workgroup_processor_mode: 1
  - .args:
      - .actual_access:  read_only
        .address_space:  global
        .offset:         0
        .size:           8
        .value_kind:     global_buffer
      - .address_space:  global
        .offset:         8
        .size:           8
        .value_kind:     global_buffer
      - .address_space:  global
        .offset:         16
        .size:           8
        .value_kind:     global_buffer
      - .address_space:  global
        .offset:         24
        .size:           8
        .value_kind:     global_buffer
      - .address_space:  global
        .offset:         32
        .size:           8
        .value_kind:     global_buffer
      - .offset:         40
        .size:           4
        .value_kind:     by_value
      - .offset:         44
        .size:           4
        .value_kind:     by_value
      - .offset:         48
        .size:           8
        .value_kind:     by_value
      - .offset:         56
        .size:           4
        .value_kind:     hidden_block_count_x
      - .offset:         60
        .size:           4
        .value_kind:     hidden_block_count_y
      - .offset:         64
        .size:           4
        .value_kind:     hidden_block_count_z
      - .offset:         68
        .size:           2
        .value_kind:     hidden_group_size_x
      - .offset:         70
        .size:           2
        .value_kind:     hidden_group_size_y
      - .offset:         72
        .size:           2
        .value_kind:     hidden_group_size_z
      - .offset:         74
        .size:           2
        .value_kind:     hidden_remainder_x
      - .offset:         76
        .size:           2
        .value_kind:     hidden_remainder_y
      - .offset:         78
        .size:           2
        .value_kind:     hidden_remainder_z
      - .offset:         96
        .size:           8
        .value_kind:     hidden_global_offset_x
      - .offset:         104
        .size:           8
        .value_kind:     hidden_global_offset_y
      - .offset:         112
        .size:           8
        .value_kind:     hidden_global_offset_z
      - .offset:         120
        .size:           2
        .value_kind:     hidden_grid_dims
      - .offset:         176
        .size:           4
        .value_kind:     hidden_dynamic_lds_size
    .group_segment_fixed_size: 0
    .kernarg_segment_align: 8
    .kernarg_segment_size: 312
    .language:       OpenCL C
    .language_version:
      - 2
      - 0
    .max_flat_workgroup_size: 1024
    .name:           _ZN4vllm27moe_align_block_size_kernelIiEEvPT_PiS3_S3_S3_iim
    .private_segment_fixed_size: 0
    .sgpr_count:     33
    .sgpr_spill_count: 0
    .symbol:         _ZN4vllm27moe_align_block_size_kernelIiEEvPT_PiS3_S3_S3_iim.kd
    .uniform_work_group_size: 1
    .uses_dynamic_stack: false
    .vgpr_count:     13
    .vgpr_spill_count: 0
    .wavefront_size: 32
    .workgroup_processor_mode: 1
  - .args:
      - .actual_access:  read_only
        .address_space:  global
        .offset:         0
        .size:           8
        .value_kind:     global_buffer
      - .address_space:  global
        .offset:         8
        .size:           8
        .value_kind:     global_buffer
      - .address_space:  global
        .offset:         16
        .size:           8
        .value_kind:     global_buffer
      - .address_space:  global
        .offset:         24
        .size:           8
        .value_kind:     global_buffer
      - .address_space:  global
        .offset:         32
        .size:           8
        .value_kind:     global_buffer
      - .offset:         40
        .size:           4
        .value_kind:     by_value
      - .offset:         44
        .size:           4
        .value_kind:     by_value
      - .offset:         48
        .size:           8
        .value_kind:     by_value
      - .offset:         56
        .size:           4
        .value_kind:     hidden_block_count_x
      - .offset:         60
        .size:           4
        .value_kind:     hidden_block_count_y
      - .offset:         64
        .size:           4
        .value_kind:     hidden_block_count_z
      - .offset:         68
        .size:           2
        .value_kind:     hidden_group_size_x
      - .offset:         70
        .size:           2
        .value_kind:     hidden_group_size_y
      - .offset:         72
        .size:           2
        .value_kind:     hidden_group_size_z
      - .offset:         74
        .size:           2
        .value_kind:     hidden_remainder_x
      - .offset:         76
        .size:           2
        .value_kind:     hidden_remainder_y
      - .offset:         78
        .size:           2
        .value_kind:     hidden_remainder_z
      - .offset:         96
        .size:           8
        .value_kind:     hidden_global_offset_x
      - .offset:         104
        .size:           8
        .value_kind:     hidden_global_offset_y
      - .offset:         112
        .size:           8
        .value_kind:     hidden_global_offset_z
      - .offset:         120
        .size:           2
        .value_kind:     hidden_grid_dims
      - .offset:         176
        .size:           4
        .value_kind:     hidden_dynamic_lds_size
    .group_segment_fixed_size: 0
    .kernarg_segment_align: 8
    .kernarg_segment_size: 312
    .language:       OpenCL C
    .language_version:
      - 2
      - 0
    .max_flat_workgroup_size: 1024
    .name:           _ZN4vllm27moe_align_block_size_kernelIlEEvPT_PiS3_S3_S3_iim
    .private_segment_fixed_size: 0
    .sgpr_count:     33
    .sgpr_spill_count: 0
    .symbol:         _ZN4vllm27moe_align_block_size_kernelIlEEvPT_PiS3_S3_S3_iim.kd
    .uniform_work_group_size: 1
    .uses_dynamic_stack: false
    .vgpr_count:     13
    .vgpr_spill_count: 0
    .wavefront_size: 32
    .workgroup_processor_mode: 1
amdhsa.target:   amdgcn-amd-amdhsa--gfx1100
amdhsa.version:
  - 1
  - 2
...

	.end_amdgpu_metadata
